;; amdgpu-corpus repo=ROCm/rocFFT kind=compiled arch=gfx1201 opt=O3
	.text
	.amdgcn_target "amdgcn-amd-amdhsa--gfx1201"
	.amdhsa_code_object_version 6
	.protected	fft_rtc_back_len1375_factors_11_5_5_5_wgs_55_tpt_55_halfLds_dp_ip_CI_unitstride_sbrr_dirReg ; -- Begin function fft_rtc_back_len1375_factors_11_5_5_5_wgs_55_tpt_55_halfLds_dp_ip_CI_unitstride_sbrr_dirReg
	.globl	fft_rtc_back_len1375_factors_11_5_5_5_wgs_55_tpt_55_halfLds_dp_ip_CI_unitstride_sbrr_dirReg
	.p2align	8
	.type	fft_rtc_back_len1375_factors_11_5_5_5_wgs_55_tpt_55_halfLds_dp_ip_CI_unitstride_sbrr_dirReg,@function
fft_rtc_back_len1375_factors_11_5_5_5_wgs_55_tpt_55_halfLds_dp_ip_CI_unitstride_sbrr_dirReg: ; @fft_rtc_back_len1375_factors_11_5_5_5_wgs_55_tpt_55_halfLds_dp_ip_CI_unitstride_sbrr_dirReg
; %bb.0:
	s_clause 0x2
	s_load_b128 s[4:7], s[0:1], 0x0
	s_load_b64 s[8:9], s[0:1], 0x50
	s_load_b64 s[10:11], s[0:1], 0x18
	v_mul_u32_u24_e32 v1, 0x4a8, v0
	v_mov_b32_e32 v3, 0
	s_delay_alu instid0(VALU_DEP_2) | instskip(NEXT) | instid1(VALU_DEP_1)
	v_lshrrev_b32_e32 v1, 16, v1
	v_add_nc_u32_e32 v5, ttmp9, v1
	v_mov_b32_e32 v1, 0
	v_mov_b32_e32 v2, 0
	;; [unrolled: 1-line block ×3, first 2 shown]
	s_wait_kmcnt 0x0
	v_cmp_lt_u64_e64 s2, s[6:7], 2
	s_delay_alu instid0(VALU_DEP_1)
	s_and_b32 vcc_lo, exec_lo, s2
	s_cbranch_vccnz .LBB0_8
; %bb.1:
	s_load_b64 s[2:3], s[0:1], 0x10
	v_mov_b32_e32 v1, 0
	v_mov_b32_e32 v2, 0
	s_add_nc_u64 s[12:13], s[10:11], 8
	s_mov_b64 s[14:15], 1
	s_wait_kmcnt 0x0
	s_add_nc_u64 s[16:17], s[2:3], 8
	s_mov_b32 s3, 0
.LBB0_2:                                ; =>This Inner Loop Header: Depth=1
	s_load_b64 s[18:19], s[16:17], 0x0
                                        ; implicit-def: $vgpr7_vgpr8
	s_mov_b32 s2, exec_lo
	s_wait_kmcnt 0x0
	v_or_b32_e32 v4, s19, v6
	s_delay_alu instid0(VALU_DEP_1)
	v_cmpx_ne_u64_e32 0, v[3:4]
	s_wait_alu 0xfffe
	s_xor_b32 s20, exec_lo, s2
	s_cbranch_execz .LBB0_4
; %bb.3:                                ;   in Loop: Header=BB0_2 Depth=1
	s_cvt_f32_u32 s2, s18
	s_cvt_f32_u32 s21, s19
	s_sub_nc_u64 s[24:25], 0, s[18:19]
	s_wait_alu 0xfffe
	s_delay_alu instid0(SALU_CYCLE_1) | instskip(SKIP_1) | instid1(SALU_CYCLE_2)
	s_fmamk_f32 s2, s21, 0x4f800000, s2
	s_wait_alu 0xfffe
	v_s_rcp_f32 s2, s2
	s_delay_alu instid0(TRANS32_DEP_1) | instskip(SKIP_1) | instid1(SALU_CYCLE_2)
	s_mul_f32 s2, s2, 0x5f7ffffc
	s_wait_alu 0xfffe
	s_mul_f32 s21, s2, 0x2f800000
	s_wait_alu 0xfffe
	s_delay_alu instid0(SALU_CYCLE_2) | instskip(SKIP_1) | instid1(SALU_CYCLE_2)
	s_trunc_f32 s21, s21
	s_wait_alu 0xfffe
	s_fmamk_f32 s2, s21, 0xcf800000, s2
	s_cvt_u32_f32 s23, s21
	s_wait_alu 0xfffe
	s_delay_alu instid0(SALU_CYCLE_1) | instskip(SKIP_1) | instid1(SALU_CYCLE_2)
	s_cvt_u32_f32 s22, s2
	s_wait_alu 0xfffe
	s_mul_u64 s[26:27], s[24:25], s[22:23]
	s_wait_alu 0xfffe
	s_mul_hi_u32 s29, s22, s27
	s_mul_i32 s28, s22, s27
	s_mul_hi_u32 s2, s22, s26
	s_mul_i32 s30, s23, s26
	s_wait_alu 0xfffe
	s_add_nc_u64 s[28:29], s[2:3], s[28:29]
	s_mul_hi_u32 s21, s23, s26
	s_mul_hi_u32 s31, s23, s27
	s_add_co_u32 s2, s28, s30
	s_wait_alu 0xfffe
	s_add_co_ci_u32 s2, s29, s21
	s_mul_i32 s26, s23, s27
	s_add_co_ci_u32 s27, s31, 0
	s_wait_alu 0xfffe
	s_add_nc_u64 s[26:27], s[2:3], s[26:27]
	s_wait_alu 0xfffe
	v_add_co_u32 v4, s2, s22, s26
	s_delay_alu instid0(VALU_DEP_1) | instskip(SKIP_1) | instid1(VALU_DEP_1)
	s_cmp_lg_u32 s2, 0
	s_add_co_ci_u32 s23, s23, s27
	v_readfirstlane_b32 s22, v4
	s_wait_alu 0xfffe
	s_delay_alu instid0(VALU_DEP_1)
	s_mul_u64 s[24:25], s[24:25], s[22:23]
	s_wait_alu 0xfffe
	s_mul_hi_u32 s27, s22, s25
	s_mul_i32 s26, s22, s25
	s_mul_hi_u32 s2, s22, s24
	s_mul_i32 s28, s23, s24
	s_wait_alu 0xfffe
	s_add_nc_u64 s[26:27], s[2:3], s[26:27]
	s_mul_hi_u32 s21, s23, s24
	s_mul_hi_u32 s22, s23, s25
	s_wait_alu 0xfffe
	s_add_co_u32 s2, s26, s28
	s_add_co_ci_u32 s2, s27, s21
	s_mul_i32 s24, s23, s25
	s_add_co_ci_u32 s25, s22, 0
	s_wait_alu 0xfffe
	s_add_nc_u64 s[24:25], s[2:3], s[24:25]
	s_wait_alu 0xfffe
	v_add_co_u32 v4, s2, v4, s24
	s_delay_alu instid0(VALU_DEP_1) | instskip(SKIP_1) | instid1(VALU_DEP_1)
	s_cmp_lg_u32 s2, 0
	s_add_co_ci_u32 s2, s23, s25
	v_mul_hi_u32 v13, v5, v4
	s_wait_alu 0xfffe
	v_mad_co_u64_u32 v[7:8], null, v5, s2, 0
	v_mad_co_u64_u32 v[9:10], null, v6, v4, 0
	;; [unrolled: 1-line block ×3, first 2 shown]
	s_delay_alu instid0(VALU_DEP_3) | instskip(SKIP_1) | instid1(VALU_DEP_4)
	v_add_co_u32 v4, vcc_lo, v13, v7
	s_wait_alu 0xfffd
	v_add_co_ci_u32_e32 v7, vcc_lo, 0, v8, vcc_lo
	s_delay_alu instid0(VALU_DEP_2) | instskip(SKIP_1) | instid1(VALU_DEP_2)
	v_add_co_u32 v4, vcc_lo, v4, v9
	s_wait_alu 0xfffd
	v_add_co_ci_u32_e32 v4, vcc_lo, v7, v10, vcc_lo
	s_wait_alu 0xfffd
	v_add_co_ci_u32_e32 v7, vcc_lo, 0, v12, vcc_lo
	s_delay_alu instid0(VALU_DEP_2) | instskip(SKIP_1) | instid1(VALU_DEP_2)
	v_add_co_u32 v4, vcc_lo, v4, v11
	s_wait_alu 0xfffd
	v_add_co_ci_u32_e32 v9, vcc_lo, 0, v7, vcc_lo
	s_delay_alu instid0(VALU_DEP_2) | instskip(SKIP_1) | instid1(VALU_DEP_3)
	v_mul_lo_u32 v10, s19, v4
	v_mad_co_u64_u32 v[7:8], null, s18, v4, 0
	v_mul_lo_u32 v11, s18, v9
	s_delay_alu instid0(VALU_DEP_2) | instskip(NEXT) | instid1(VALU_DEP_2)
	v_sub_co_u32 v7, vcc_lo, v5, v7
	v_add3_u32 v8, v8, v11, v10
	s_delay_alu instid0(VALU_DEP_1) | instskip(SKIP_1) | instid1(VALU_DEP_1)
	v_sub_nc_u32_e32 v10, v6, v8
	s_wait_alu 0xfffd
	v_subrev_co_ci_u32_e64 v10, s2, s19, v10, vcc_lo
	v_add_co_u32 v11, s2, v4, 2
	s_wait_alu 0xf1ff
	v_add_co_ci_u32_e64 v12, s2, 0, v9, s2
	v_sub_co_u32 v13, s2, v7, s18
	v_sub_co_ci_u32_e32 v8, vcc_lo, v6, v8, vcc_lo
	s_wait_alu 0xf1ff
	v_subrev_co_ci_u32_e64 v10, s2, 0, v10, s2
	s_delay_alu instid0(VALU_DEP_3) | instskip(NEXT) | instid1(VALU_DEP_3)
	v_cmp_le_u32_e32 vcc_lo, s18, v13
	v_cmp_eq_u32_e64 s2, s19, v8
	s_wait_alu 0xfffd
	v_cndmask_b32_e64 v13, 0, -1, vcc_lo
	v_cmp_le_u32_e32 vcc_lo, s19, v10
	s_wait_alu 0xfffd
	v_cndmask_b32_e64 v14, 0, -1, vcc_lo
	v_cmp_le_u32_e32 vcc_lo, s18, v7
	;; [unrolled: 3-line block ×3, first 2 shown]
	s_wait_alu 0xfffd
	v_cndmask_b32_e64 v15, 0, -1, vcc_lo
	v_cmp_eq_u32_e32 vcc_lo, s19, v10
	s_wait_alu 0xf1ff
	s_delay_alu instid0(VALU_DEP_2)
	v_cndmask_b32_e64 v7, v15, v7, s2
	s_wait_alu 0xfffd
	v_cndmask_b32_e32 v10, v14, v13, vcc_lo
	v_add_co_u32 v13, vcc_lo, v4, 1
	s_wait_alu 0xfffd
	v_add_co_ci_u32_e32 v14, vcc_lo, 0, v9, vcc_lo
	s_delay_alu instid0(VALU_DEP_3) | instskip(SKIP_2) | instid1(VALU_DEP_3)
	v_cmp_ne_u32_e32 vcc_lo, 0, v10
	s_wait_alu 0xfffd
	v_cndmask_b32_e32 v10, v13, v11, vcc_lo
	v_cndmask_b32_e32 v8, v14, v12, vcc_lo
	v_cmp_ne_u32_e32 vcc_lo, 0, v7
	s_wait_alu 0xfffd
	s_delay_alu instid0(VALU_DEP_2)
	v_dual_cndmask_b32 v7, v4, v10 :: v_dual_cndmask_b32 v8, v9, v8
.LBB0_4:                                ;   in Loop: Header=BB0_2 Depth=1
	s_wait_alu 0xfffe
	s_and_not1_saveexec_b32 s2, s20
	s_cbranch_execz .LBB0_6
; %bb.5:                                ;   in Loop: Header=BB0_2 Depth=1
	v_cvt_f32_u32_e32 v4, s18
	s_sub_co_i32 s20, 0, s18
	s_delay_alu instid0(VALU_DEP_1) | instskip(NEXT) | instid1(TRANS32_DEP_1)
	v_rcp_iflag_f32_e32 v4, v4
	v_mul_f32_e32 v4, 0x4f7ffffe, v4
	s_delay_alu instid0(VALU_DEP_1) | instskip(SKIP_1) | instid1(VALU_DEP_1)
	v_cvt_u32_f32_e32 v4, v4
	s_wait_alu 0xfffe
	v_mul_lo_u32 v7, s20, v4
	s_delay_alu instid0(VALU_DEP_1) | instskip(NEXT) | instid1(VALU_DEP_1)
	v_mul_hi_u32 v7, v4, v7
	v_add_nc_u32_e32 v4, v4, v7
	s_delay_alu instid0(VALU_DEP_1) | instskip(NEXT) | instid1(VALU_DEP_1)
	v_mul_hi_u32 v4, v5, v4
	v_mul_lo_u32 v7, v4, s18
	v_add_nc_u32_e32 v8, 1, v4
	s_delay_alu instid0(VALU_DEP_2) | instskip(NEXT) | instid1(VALU_DEP_1)
	v_sub_nc_u32_e32 v7, v5, v7
	v_subrev_nc_u32_e32 v9, s18, v7
	v_cmp_le_u32_e32 vcc_lo, s18, v7
	s_wait_alu 0xfffd
	s_delay_alu instid0(VALU_DEP_2) | instskip(NEXT) | instid1(VALU_DEP_1)
	v_dual_cndmask_b32 v7, v7, v9 :: v_dual_cndmask_b32 v4, v4, v8
	v_cmp_le_u32_e32 vcc_lo, s18, v7
	s_delay_alu instid0(VALU_DEP_2) | instskip(SKIP_1) | instid1(VALU_DEP_1)
	v_add_nc_u32_e32 v8, 1, v4
	s_wait_alu 0xfffd
	v_dual_cndmask_b32 v7, v4, v8 :: v_dual_mov_b32 v8, v3
.LBB0_6:                                ;   in Loop: Header=BB0_2 Depth=1
	s_wait_alu 0xfffe
	s_or_b32 exec_lo, exec_lo, s2
	s_load_b64 s[20:21], s[12:13], 0x0
	s_delay_alu instid0(VALU_DEP_1)
	v_mul_lo_u32 v4, v8, s18
	v_mul_lo_u32 v11, v7, s19
	v_mad_co_u64_u32 v[9:10], null, v7, s18, 0
	s_add_nc_u64 s[14:15], s[14:15], 1
	s_add_nc_u64 s[12:13], s[12:13], 8
	s_wait_alu 0xfffe
	v_cmp_ge_u64_e64 s2, s[14:15], s[6:7]
	s_add_nc_u64 s[16:17], s[16:17], 8
	s_delay_alu instid0(VALU_DEP_2) | instskip(NEXT) | instid1(VALU_DEP_3)
	v_add3_u32 v4, v10, v11, v4
	v_sub_co_u32 v5, vcc_lo, v5, v9
	s_wait_alu 0xfffd
	s_delay_alu instid0(VALU_DEP_2) | instskip(SKIP_3) | instid1(VALU_DEP_2)
	v_sub_co_ci_u32_e32 v4, vcc_lo, v6, v4, vcc_lo
	s_and_b32 vcc_lo, exec_lo, s2
	s_wait_kmcnt 0x0
	v_mul_lo_u32 v6, s21, v5
	v_mul_lo_u32 v4, s20, v4
	v_mad_co_u64_u32 v[1:2], null, s20, v5, v[1:2]
	s_delay_alu instid0(VALU_DEP_1)
	v_add3_u32 v2, v6, v2, v4
	s_wait_alu 0xfffe
	s_cbranch_vccnz .LBB0_9
; %bb.7:                                ;   in Loop: Header=BB0_2 Depth=1
	v_dual_mov_b32 v5, v7 :: v_dual_mov_b32 v6, v8
	s_branch .LBB0_2
.LBB0_8:
	v_dual_mov_b32 v8, v6 :: v_dual_mov_b32 v7, v5
.LBB0_9:
	s_lshl_b64 s[2:3], s[6:7], 3
	v_mul_hi_u32 v5, 0x4a7904b, v0
	s_wait_alu 0xfffe
	s_add_nc_u64 s[2:3], s[10:11], s[2:3]
                                        ; implicit-def: $vgpr14_vgpr15
                                        ; implicit-def: $vgpr46_vgpr47
                                        ; implicit-def: $vgpr54_vgpr55
                                        ; implicit-def: $vgpr62_vgpr63
                                        ; implicit-def: $vgpr74_vgpr75
                                        ; implicit-def: $vgpr86_vgpr87
                                        ; implicit-def: $vgpr94_vgpr95
                                        ; implicit-def: $vgpr102_vgpr103
                                        ; implicit-def: $vgpr110_vgpr111
                                        ; implicit-def: $vgpr118_vgpr119
                                        ; implicit-def: $vgpr122_vgpr123
                                        ; implicit-def: $vgpr78_vgpr79
                                        ; implicit-def: $vgpr50_vgpr51
                                        ; implicit-def: $vgpr58_vgpr59
                                        ; implicit-def: $vgpr66_vgpr67
                                        ; implicit-def: $vgpr82_vgpr83
                                        ; implicit-def: $vgpr90_vgpr91
                                        ; implicit-def: $vgpr98_vgpr99
                                        ; implicit-def: $vgpr106_vgpr107
                                        ; implicit-def: $vgpr114_vgpr115
                                        ; implicit-def: $vgpr130_vgpr131
                                        ; implicit-def: $vgpr126_vgpr127
                                        ; implicit-def: $vgpr70_vgpr71
	s_load_b64 s[2:3], s[2:3], 0x0
	s_load_b64 s[0:1], s[0:1], 0x20
	s_wait_kmcnt 0x0
	v_mul_lo_u32 v3, s2, v8
	v_mul_lo_u32 v4, s3, v7
	v_mad_co_u64_u32 v[1:2], null, s2, v7, v[1:2]
	v_cmp_gt_u64_e32 vcc_lo, s[0:1], v[7:8]
	s_delay_alu instid0(VALU_DEP_2) | instskip(SKIP_1) | instid1(VALU_DEP_2)
	v_add3_u32 v2, v4, v2, v3
	v_mul_u32_u24_e32 v3, 55, v5
	v_lshlrev_b64_e32 v[1:2], 4, v[1:2]
	s_delay_alu instid0(VALU_DEP_2)
	v_sub_nc_u32_e32 v178, v0, v3
	s_clause 0xa
	scratch_store_b64 off, v[1:2], off offset:160
	; meta instruction
	scratch_store_b128 off, v[0:3], off offset:16
	; meta instruction
	scratch_store_b128 off, v[0:3], off
	; meta instruction
	scratch_store_b128 off, v[0:3], off offset:32
	; meta instruction
	scratch_store_b128 off, v[0:3], off offset:80
	; meta instruction
	scratch_store_b128 off, v[0:3], off offset:64
	; meta instruction
	scratch_store_b128 off, v[0:3], off offset:48
	; meta instruction
	scratch_store_b128 off, v[0:3], off offset:96
	; meta instruction
	scratch_store_b128 off, v[0:3], off offset:112
	; meta instruction
	scratch_store_b128 off, v[0:3], off offset:128
	; meta instruction
	scratch_store_b128 off, v[0:3], off offset:144
	s_and_saveexec_b32 s1, vcc_lo
	s_cbranch_execz .LBB0_13
; %bb.10:
	scratch_load_b64 v[2:3], off, off offset:160 ; 8-byte Folded Reload
	v_mov_b32_e32 v179, 0
                                        ; implicit-def: $vgpr12_vgpr13
	s_delay_alu instid0(VALU_DEP_1) | instskip(SKIP_4) | instid1(VALU_DEP_2)
	v_lshlrev_b64_e32 v[0:1], 4, v[178:179]
	s_wait_loadcnt 0x0
	v_add_co_u32 v2, s0, s8, v2
	s_wait_alu 0xf1ff
	v_add_co_ci_u32_e64 v3, s0, s9, v3, s0
	v_add_co_u32 v6, s0, v2, v0
	s_wait_alu 0xf1ff
	s_delay_alu instid0(VALU_DEP_2)
	v_add_co_ci_u32_e64 v7, s0, v3, v1, s0
	v_cmp_gt_u32_e64 s0, 15, v178
                                        ; implicit-def: $vgpr0_vgpr1
	s_clause 0x15
	global_load_b128 v[68:71], v[6:7], off
	global_load_b128 v[76:79], v[6:7], off offset:880
	global_load_b128 v[124:127], v[6:7], off offset:2000
	;; [unrolled: 1-line block ×21, first 2 shown]
	s_clause 0x9
	scratch_store_b128 off, v[0:3], off offset:144
	; meta instruction
	scratch_store_b128 off, v[0:3], off offset:128
	; meta instruction
	scratch_store_b128 off, v[0:3], off offset:112
	; meta instruction
	scratch_store_b128 off, v[0:3], off offset:96
	; meta instruction
	scratch_store_b128 off, v[0:3], off offset:48
	; meta instruction
	scratch_store_b128 off, v[0:3], off offset:64
	; meta instruction
	scratch_store_b128 off, v[0:3], off offset:80
	; meta instruction
	scratch_store_b128 off, v[0:3], off offset:32
	; meta instruction
	scratch_store_b128 off, v[0:3], off
	; meta instruction
	scratch_store_b128 off, v[0:3], off offset:16
	s_and_saveexec_b32 s2, s0
	s_cbranch_execz .LBB0_12
; %bb.11:
	s_clause 0x1
	global_load_b128 v[12:15], v[6:7], off offset:1760
	global_load_b128 v[0:3], v[6:7], off offset:3760
	s_wait_loadcnt 0x0
	scratch_store_b128 off, v[0:3], off offset:144 ; 16-byte Folded Spill
	global_load_b128 v[0:3], v[6:7], off offset:5760
	s_wait_loadcnt 0x0
	scratch_store_b128 off, v[0:3], off offset:128 ; 16-byte Folded Spill
	;; [unrolled: 3-line block ×8, first 2 shown]
	global_load_b128 v[0:3], v[6:7], off offset:19760
	s_wait_loadcnt 0x0
	scratch_store_b128 off, v[0:3], off     ; 16-byte Folded Spill
	global_load_b128 v[0:3], v[6:7], off offset:21760
	s_wait_loadcnt 0x0
	scratch_store_b128 off, v[0:3], off offset:16 ; 16-byte Folded Spill
.LBB0_12:
	s_wait_alu 0xfffe
	s_or_b32 exec_lo, exec_lo, s2
.LBB0_13:
	s_wait_alu 0xfffe
	s_or_b32 exec_lo, exec_lo, s1
	s_wait_loadcnt 0x13
	v_add_f64_e32 v[132:133], v[124:125], v[68:69]
	s_wait_loadcnt 0x12
	v_add_f64_e32 v[134:135], v[120:121], v[76:77]
	s_wait_loadcnt 0x1
	v_add_f64_e64 v[136:137], v[126:127], -v[50:51]
	s_wait_loadcnt 0x0
	v_add_f64_e64 v[152:153], v[122:123], -v[46:47]
	v_add_f64_e64 v[138:139], v[130:131], -v[58:59]
	;; [unrolled: 1-line block ×3, first 2 shown]
	s_mov_b32 s24, 0xf8bb580b
	s_mov_b32 s30, 0x8eee2c13
	;; [unrolled: 1-line block ×10, first 2 shown]
	v_add_f64_e32 v[140:141], v[48:49], v[124:125]
	v_add_f64_e64 v[160:161], v[110:111], -v[62:63]
	v_add_f64_e64 v[156:157], v[118:119], -v[54:55]
	v_add_f64_e32 v[154:155], v[44:45], v[120:121]
	s_mov_b32 s35, 0x3fd207e7
	s_mov_b32 s29, 0x3fefac9e
	;; [unrolled: 1-line block ×4, first 2 shown]
	s_wait_alu 0xfffe
	s_mov_b32 s34, s26
	s_mov_b32 s28, s16
	s_mov_b32 s22, s24
	s_mov_b32 s20, s30
	v_add_f64_e32 v[144:145], v[56:57], v[128:129]
	v_add_f64_e32 v[148:149], v[64:65], v[112:113]
	s_mov_b32 s12, 0x7f775887
	s_mov_b32 s14, 0x9bcd5057
	;; [unrolled: 1-line block ×8, first 2 shown]
	v_add_f64_e32 v[132:133], v[128:129], v[132:133]
	v_add_f64_e32 v[134:135], v[116:117], v[134:135]
	v_mul_f64_e32 v[179:180], s[24:25], v[136:137]
	v_mul_f64_e32 v[181:182], s[30:31], v[136:137]
	v_mul_f64_e32 v[183:184], s[16:17], v[136:137]
	v_mul_f64_e32 v[185:186], s[18:19], v[136:137]
	v_mul_f64_e32 v[136:137], s[26:27], v[136:137]
	v_mul_f64_e32 v[213:214], s[30:31], v[152:153]
	v_mul_f64_e32 v[215:216], s[16:17], v[152:153]
	v_mul_f64_e32 v[211:212], s[24:25], v[152:153]
	v_mul_f64_e32 v[217:218], s[18:19], v[152:153]
	v_mul_f64_e32 v[152:153], s[26:27], v[152:153]
	v_mul_f64_e32 v[187:188], s[30:31], v[138:139]
	v_mul_f64_e32 v[189:190], s[18:19], v[138:139]
	v_mul_f64_e32 v[191:192], s[34:35], v[138:139]
	v_mul_f64_e32 v[193:194], s[28:29], v[138:139]
	s_wait_alu 0xfffe
	v_mul_f64_e32 v[138:139], s[22:23], v[138:139]
	v_mul_f64_e32 v[195:196], s[16:17], v[142:143]
	;; [unrolled: 1-line block ×6, first 2 shown]
	s_mov_b32 s7, 0x3fda9628
	s_mov_b32 s3, 0xbfc2375f
	v_add_f64_e32 v[162:163], v[60:61], v[108:109]
	v_mul_f64_e32 v[229:230], s[34:35], v[160:161]
	v_add_f64_e32 v[158:159], v[52:53], v[116:117]
	v_mul_f64_e32 v[219:220], s[30:31], v[156:157]
	v_mul_f64_e32 v[221:222], s[18:19], v[156:157]
	;; [unrolled: 1-line block ×9, first 2 shown]
	v_add_f64_e64 v[146:147], v[106:107], -v[82:83]
	v_add_f64_e64 v[168:169], v[102:103], -v[74:75]
	v_add_f64_e32 v[132:133], v[112:113], v[132:133]
	v_add_f64_e32 v[134:135], v[108:109], v[134:135]
	v_fma_f64 v[247:248], v[140:141], s[10:11], v[179:180]
	v_fma_f64 v[179:180], v[140:141], s[10:11], -v[179:180]
	s_wait_alu 0xfffe
	v_fma_f64 v[249:250], v[140:141], s[6:7], v[181:182]
	v_fma_f64 v[253:254], v[140:141], s[12:13], v[185:186]
	;; [unrolled: 1-line block ×3, first 2 shown]
	v_fma_f64 v[181:182], v[140:141], s[6:7], -v[181:182]
	v_fma_f64 v[251:252], v[140:141], s[2:3], v[183:184]
	v_fma_f64 v[183:184], v[140:141], s[2:3], -v[183:184]
	v_fma_f64 v[185:186], v[140:141], s[12:13], -v[185:186]
	;; [unrolled: 1-line block ×3, first 2 shown]
	v_fma_f64 v[20:21], v[154:155], s[6:7], v[213:214]
	v_fma_f64 v[22:23], v[154:155], s[6:7], -v[213:214]
	v_fma_f64 v[213:214], v[154:155], s[2:3], v[215:216]
	v_fma_f64 v[24:25], v[154:155], s[12:13], v[217:218]
	v_fma_f64 v[26:27], v[154:155], s[12:13], -v[217:218]
	v_fma_f64 v[217:218], v[154:155], s[14:15], v[152:153]
	v_fma_f64 v[152:153], v[154:155], s[14:15], -v[152:153]
	v_fma_f64 v[215:216], v[154:155], s[2:3], -v[215:216]
	v_fma_f64 v[140:141], v[144:145], s[6:7], v[187:188]
	v_fma_f64 v[187:188], v[144:145], s[6:7], -v[187:188]
	v_fma_f64 v[0:1], v[144:145], s[12:13], v[189:190]
	;; [unrolled: 2-line block ×9, first 2 shown]
	v_fma_f64 v[18:19], v[148:149], s[10:11], -v[201:202]
	v_add_f64_e32 v[132:133], v[104:105], v[132:133]
	v_add_f64_e32 v[134:135], v[100:101], v[134:135]
	v_fma_f64 v[201:202], v[148:149], s[12:13], v[142:143]
	v_fma_f64 v[142:143], v[148:149], s[12:13], -v[142:143]
	v_fma_f64 v[148:149], v[154:155], s[10:11], v[211:212]
	v_fma_f64 v[211:212], v[154:155], s[10:11], -v[211:212]
	;; [unrolled: 2-line block ×3, first 2 shown]
	v_add_f64_e32 v[229:230], v[68:69], v[253:254]
	v_add_f64_e32 v[176:177], v[68:69], v[176:177]
	v_fma_f64 v[154:155], v[158:159], s[6:7], v[219:220]
	v_fma_f64 v[219:220], v[158:159], s[6:7], -v[219:220]
	v_fma_f64 v[28:29], v[158:159], s[12:13], v[221:222]
	v_add_f64_e32 v[247:248], v[68:69], v[247:248]
	v_fma_f64 v[32:33], v[158:159], s[2:3], v[225:226]
	v_add_f64_e32 v[34:35], v[68:69], v[179:180]
	v_fma_f64 v[179:180], v[158:159], s[2:3], -v[225:226]
	v_add_f64_e32 v[225:226], v[68:69], v[249:250]
	v_fma_f64 v[249:250], v[158:159], s[10:11], v[156:157]
	v_add_f64_e32 v[181:182], v[68:69], v[181:182]
	v_fma_f64 v[156:157], v[158:159], s[10:11], -v[156:157]
	v_add_f64_e32 v[183:184], v[68:69], v[183:184]
	v_add_f64_e32 v[185:186], v[68:69], v[185:186]
	;; [unrolled: 1-line block ×3, first 2 shown]
	v_fma_f64 v[253:254], v[162:163], s[6:7], v[231:232]
	v_fma_f64 v[231:232], v[162:163], s[6:7], -v[231:232]
	v_fma_f64 v[40:41], v[162:163], s[10:11], v[233:234]
	v_fma_f64 v[42:43], v[162:163], s[10:11], -v[233:234]
	;; [unrolled: 2-line block ×3, first 2 shown]
	v_add_f64_e32 v[24:25], v[76:77], v[24:25]
	v_add_f64_e32 v[22:23], v[76:77], v[22:23]
	;; [unrolled: 1-line block ×5, first 2 shown]
	v_add_f64_e64 v[164:165], v[98:99], -v[90:91]
	v_mul_f64_e32 v[203:204], s[18:19], v[146:147]
	v_mul_f64_e32 v[205:206], s[28:29], v[146:147]
	v_add_f64_e32 v[132:133], v[96:97], v[132:133]
	v_add_f64_e32 v[30:31], v[92:93], v[134:135]
	v_fma_f64 v[134:135], v[158:159], s[12:13], -v[221:222]
	v_fma_f64 v[221:222], v[158:159], s[14:15], v[223:224]
	v_fma_f64 v[223:224], v[158:159], s[14:15], -v[223:224]
	v_add_f64_e32 v[158:159], v[68:69], v[251:252]
	v_add_f64_e32 v[68:69], v[68:69], v[136:137]
	;; [unrolled: 1-line block ×3, first 2 shown]
	v_fma_f64 v[251:252], v[162:163], s[2:3], v[227:228]
	v_fma_f64 v[227:228], v[162:163], s[2:3], -v[227:228]
	v_add_f64_e32 v[162:163], v[76:77], v[217:218]
	v_add_f64_e32 v[213:214], v[76:77], v[215:216]
	;; [unrolled: 1-line block ×4, first 2 shown]
	v_mul_f64_e32 v[207:208], s[24:25], v[146:147]
	v_mul_f64_e32 v[209:210], s[26:27], v[146:147]
	;; [unrolled: 1-line block ×3, first 2 shown]
	v_add_f64_e32 v[4:5], v[4:5], v[229:230]
	v_add_f64_e32 v[176:177], v[193:194], v[176:177]
	;; [unrolled: 1-line block ×7, first 2 shown]
	v_add_f64_e64 v[172:173], v[94:95], -v[86:87]
	v_mul_f64_e32 v[245:246], s[28:29], v[168:169]
	v_mul_f64_e32 v[211:212], s[24:25], v[168:169]
	v_add_f64_e32 v[20:21], v[28:29], v[20:21]
	v_mul_f64_e32 v[243:244], s[18:19], v[168:169]
	v_mul_f64_e32 v[215:216], s[26:27], v[168:169]
	v_mul_f64_e32 v[168:169], s[20:21], v[168:169]
	v_add_f64_e32 v[24:25], v[32:33], v[24:25]
	v_add_f64_e32 v[26:27], v[179:180], v[26:27]
	v_add_f64_e32 v[140:141], v[140:141], v[247:248]
	v_add_f64_e32 v[0:1], v[0:1], v[225:226]
	v_add_f64_e32 v[166:167], v[88:89], v[96:97]
	v_mul_f64_e32 v[235:236], s[26:27], v[164:165]
	v_mul_f64_e32 v[237:238], s[22:23], v[164:165]
	v_add_f64_e32 v[132:133], v[88:89], v[132:133]
	v_add_f64_e32 v[30:31], v[84:85], v[30:31]
	;; [unrolled: 1-line block ×4, first 2 shown]
	v_mul_f64_e32 v[239:240], s[18:19], v[164:165]
	v_add_f64_e32 v[158:159], v[189:190], v[158:159]
	v_add_f64_e32 v[68:69], v[138:139], v[68:69]
	;; [unrolled: 1-line block ×3, first 2 shown]
	v_mul_f64_e32 v[241:242], s[20:21], v[164:165]
	v_mul_f64_e32 v[164:165], s[16:17], v[164:165]
	v_add_f64_e32 v[32:33], v[249:250], v[162:163]
	v_add_f64_e32 v[136:137], v[223:224], v[213:214]
	;; [unrolled: 1-line block ×4, first 2 shown]
	v_fma_f64 v[225:226], v[150:151], s[2:3], v[205:206]
	v_fma_f64 v[193:194], v[150:151], s[14:15], v[209:210]
	;; [unrolled: 1-line block ×3, first 2 shown]
	v_add_f64_e32 v[4:5], v[16:17], v[4:5]
	v_add_f64_e32 v[16:17], v[201:202], v[176:177]
	v_fma_f64 v[209:210], v[150:151], s[14:15], -v[209:210]
	v_fma_f64 v[146:147], v[150:151], s[6:7], -v[146:147]
	;; [unrolled: 1-line block ×3, first 2 shown]
	v_add_f64_e32 v[6:7], v[18:19], v[6:7]
	v_fma_f64 v[185:186], v[150:151], s[10:11], v[207:208]
	v_fma_f64 v[207:208], v[150:151], s[10:11], -v[207:208]
	v_add_f64_e32 v[2:3], v[10:11], v[2:3]
	v_add_f64_e32 v[10:11], v[199:200], v[183:184]
	v_fma_f64 v[191:192], v[150:151], s[12:13], v[203:204]
	v_fma_f64 v[203:204], v[150:151], s[12:13], -v[203:204]
	v_add_f64_e32 v[34:35], v[195:196], v[34:35]
	v_add_f64_e32 v[174:175], v[84:85], v[92:93]
	v_mul_f64_e32 v[187:188], s[22:23], v[172:173]
	v_mul_f64_e32 v[217:218], s[18:19], v[172:173]
	v_fma_f64 v[213:214], v[170:171], s[2:3], v[245:246]
	v_fma_f64 v[221:222], v[170:171], s[10:11], v[211:212]
	v_add_f64_e32 v[20:21], v[36:37], v[20:21]
	v_mul_f64_e32 v[181:182], s[20:21], v[172:173]
	v_mul_f64_e32 v[189:190], s[16:17], v[172:173]
	v_add_f64_e32 v[132:133], v[80:81], v[132:133]
	v_add_f64_e32 v[30:31], v[72:73], v[30:31]
	v_fma_f64 v[223:224], v[170:171], s[14:15], v[215:216]
	v_fma_f64 v[229:230], v[170:171], s[6:7], v[168:169]
	v_add_f64_e32 v[24:25], v[40:41], v[24:25]
	v_fma_f64 v[215:216], v[170:171], s[14:15], -v[215:216]
	v_add_f64_e32 v[18:19], v[142:143], v[68:69]
	v_add_f64_e32 v[28:29], v[253:254], v[28:29]
	v_fma_f64 v[168:169], v[170:171], s[6:7], -v[168:169]
	v_add_f64_e32 v[26:27], v[42:43], v[26:27]
	v_add_f64_e32 v[32:33], v[233:234], v[32:33]
	;; [unrolled: 1-line block ×3, first 2 shown]
	v_mul_f64_e32 v[172:173], s[26:27], v[172:173]
	v_fma_f64 v[219:220], v[170:171], s[2:3], -v[245:246]
	v_fma_f64 v[211:212], v[170:171], s[10:11], -v[211:212]
	v_add_f64_e32 v[22:23], v[38:39], v[22:23]
	v_add_f64_e32 v[38:39], v[231:232], v[136:137]
	v_add_f64_e32 v[140:141], v[144:145], v[140:141]
	v_add_f64_e32 v[0:1], v[8:9], v[0:1]
	v_add_f64_e32 v[8:9], v[197:198], v[158:159]
	v_fma_f64 v[162:163], v[170:171], s[12:13], v[243:244]
	v_add_f64_e32 v[42:43], v[251:252], v[138:139]
	v_fma_f64 v[179:180], v[170:171], s[12:13], -v[243:244]
	v_add_f64_e32 v[68:69], v[227:228], v[76:77]
	v_fma_f64 v[134:135], v[166:167], s[6:7], v[241:242]
	v_fma_f64 v[138:139], v[166:167], s[2:3], v[164:165]
	v_add_f64_e32 v[4:5], v[193:194], v[4:5]
	v_add_f64_e32 v[16:17], v[148:149], v[16:17]
	v_fma_f64 v[136:137], v[166:167], s[6:7], -v[241:242]
	v_fma_f64 v[142:143], v[166:167], s[2:3], -v[164:165]
	v_add_f64_e32 v[6:7], v[209:210], v[6:7]
	v_fma_f64 v[156:157], v[166:167], s[10:11], -v[237:238]
	v_add_f64_e32 v[2:3], v[205:206], v[2:3]
	v_add_f64_e32 v[10:11], v[207:208], v[10:11]
	v_fma_f64 v[152:153], v[166:167], s[14:15], -v[235:236]
	v_add_f64_e32 v[34:35], v[203:204], v[34:35]
	v_fma_f64 v[144:145], v[174:175], s[10:11], v[187:188]
	v_fma_f64 v[160:161], v[174:175], s[12:13], v[217:218]
	v_add_f64_e32 v[40:41], v[64:65], v[132:133]
	v_add_f64_e32 v[30:31], v[60:61], v[30:31]
	v_fma_f64 v[132:133], v[166:167], s[12:13], -v[239:240]
	v_add_f64_e32 v[20:21], v[213:214], v[20:21]
	v_fma_f64 v[164:165], v[174:175], s[6:7], v[181:182]
	v_fma_f64 v[170:171], v[174:175], s[2:3], v[189:190]
	v_add_f64_e32 v[18:19], v[146:147], v[18:19]
	v_add_f64_e32 v[28:29], v[221:222], v[28:29]
	;; [unrolled: 1-line block ×3, first 2 shown]
	v_fma_f64 v[150:151], v[166:167], s[14:15], v[235:236]
	v_add_f64_e32 v[32:33], v[229:230], v[32:33]
	v_fma_f64 v[154:155], v[166:167], s[10:11], v[237:238]
	v_fma_f64 v[76:77], v[166:167], s[12:13], v[239:240]
	v_fma_f64 v[166:167], v[174:175], s[6:7], -v[181:182]
	v_fma_f64 v[176:177], v[174:175], s[2:3], -v[189:190]
	v_add_f64_e32 v[26:27], v[215:216], v[26:27]
	v_add_f64_e32 v[36:37], v[168:169], v[36:37]
	v_fma_f64 v[158:159], v[174:175], s[10:11], -v[187:188]
	v_fma_f64 v[181:182], v[174:175], s[14:15], v[172:173]
	v_fma_f64 v[172:173], v[174:175], s[14:15], -v[172:173]
	v_fma_f64 v[174:175], v[174:175], s[12:13], -v[217:218]
	v_add_f64_e32 v[22:23], v[219:220], v[22:23]
	v_add_f64_e32 v[38:39], v[211:212], v[38:39]
	;; [unrolled: 1-line block ×10, first 2 shown]
	v_cmp_gt_u32_e64 s0, 15, v178
	v_add_f64_e32 v[2:3], v[156:157], v[2:3]
	v_add_f64_e32 v[34:35], v[152:153], v[34:35]
	;; [unrolled: 1-line block ×6, first 2 shown]
	v_mad_u32_u24 v132, 0x58, v178, 0
	v_add_f64_e32 v[18:19], v[142:143], v[18:19]
	v_add_f64_e32 v[28:29], v[160:161], v[28:29]
	;; [unrolled: 1-line block ×3, first 2 shown]
	s_delay_alu instid0(VALU_DEP_4)
	v_add_nc_u32_e32 v133, 0x12e8, v132
	v_add_f64_e32 v[32:33], v[170:171], v[32:33]
	v_add_nc_u32_e32 v137, 0x12f8, v132
	v_add_nc_u32_e32 v136, 0x1308, v132
	;; [unrolled: 1-line block ×4, first 2 shown]
	v_add_f64_e32 v[26:27], v[166:167], v[26:27]
	v_add_f64_e32 v[36:37], v[176:177], v[36:37]
	;; [unrolled: 1-line block ×11, first 2 shown]
	ds_store_2addr_b64 v132, v[4:5], v[16:17] offset0:4 offset1:5
	ds_store_2addr_b64 v132, v[18:19], v[6:7] offset0:6 offset1:7
	;; [unrolled: 1-line block ×3, first 2 shown]
	ds_store_b64 v132, v[34:35] offset:80
	ds_store_2addr_b64 v137, v[20:21], v[28:29] offset1:1
	ds_store_2addr_b64 v136, v[24:25], v[32:33] offset1:1
	;; [unrolled: 1-line block ×5, first 2 shown]
	ds_store_2addr_b64 v132, v[0:1], v[8:9] offset0:2 offset1:3
	ds_store_2addr_b64 v133, v[30:31], v[42:43] offset1:1
	ds_store_b64 v132, v[68:69] offset:4920
	s_and_saveexec_b32 s1, s0
	s_cbranch_execz .LBB0_15
; %bb.14:
	s_clause 0x9
	scratch_load_b128 v[4:7], off, off offset:144
	scratch_load_b128 v[20:23], off, off offset:128
	;; [unrolled: 1-line block ×3, first 2 shown]
	scratch_load_b128 v[170:173], off, off
	scratch_load_b128 v[40:43], off, off offset:112
	scratch_load_b128 v[150:153], off, off offset:96
	scratch_load_b128 v[179:182], off, off offset:32
	scratch_load_b128 v[183:186], off, off offset:48
	scratch_load_b128 v[191:194], off, off offset:80
	scratch_load_b128 v[187:190], off, off offset:64
	s_mov_b32 s37, 0x3fe82f19
	s_mov_b32 s36, s18
	s_wait_loadcnt 0x9
	v_add_f64_e32 v[0:1], v[4:5], v[12:13]
	s_wait_loadcnt 0x7
	v_add_f64_e32 v[2:3], v[174:175], v[4:5]
	;; [unrolled: 2-line block ×3, first 2 shown]
	v_add_f64_e64 v[6:7], v[6:7], -v[176:177]
	v_add_f64_e64 v[22:23], v[22:23], -v[172:173]
	s_wait_loadcnt 0x3
	v_add_f64_e64 v[42:43], v[42:43], -v[181:182]
	v_add_f64_e32 v[0:1], v[20:21], v[0:1]
	v_add_f64_e32 v[20:21], v[179:180], v[40:41]
	v_mul_f64_e32 v[8:9], s[14:15], v[2:3]
	v_mul_f64_e32 v[10:11], s[12:13], v[2:3]
	v_mul_f64_e32 v[16:17], s[2:3], v[2:3]
	v_mul_f64_e32 v[18:19], s[6:7], v[2:3]
	v_mul_f64_e32 v[2:3], s[10:11], v[2:3]
	v_mul_f64_e32 v[24:25], s[10:11], v[4:5]
	v_mul_f64_e32 v[26:27], s[2:3], v[4:5]
	v_mul_f64_e32 v[28:29], s[14:15], v[4:5]
	v_mul_f64_e32 v[30:31], s[12:13], v[4:5]
	v_mul_f64_e32 v[4:5], s[6:7], v[4:5]
	v_add_f64_e32 v[0:1], v[40:41], v[0:1]
	v_mul_f64_e32 v[68:69], s[12:13], v[20:21]
	v_fma_f64 v[32:33], v[6:7], s[34:35], v[8:9]
	v_fma_f64 v[8:9], v[6:7], s[26:27], v[8:9]
	;; [unrolled: 1-line block ×10, first 2 shown]
	s_wait_loadcnt 0x1
	v_add_f64_e32 v[6:7], v[191:192], v[150:151]
	v_mul_f64_e32 v[76:77], s[10:11], v[20:21]
	v_mul_f64_e32 v[138:139], s[6:7], v[20:21]
	;; [unrolled: 1-line block ×3, first 2 shown]
	v_fma_f64 v[142:143], v[22:23], s[24:25], v[24:25]
	v_fma_f64 v[24:25], v[22:23], s[22:23], v[24:25]
	;; [unrolled: 1-line block ×8, first 2 shown]
	v_mul_f64_e32 v[20:21], s[2:3], v[20:21]
	v_add_f64_e32 v[0:1], v[150:151], v[0:1]
	v_fma_f64 v[150:151], v[22:23], s[20:21], v[4:5]
	v_fma_f64 v[4:5], v[22:23], s[30:31], v[4:5]
	v_add_f64_e32 v[22:23], v[12:13], v[32:33]
	v_add_f64_e32 v[8:9], v[12:13], v[8:9]
	;; [unrolled: 1-line block ×10, first 2 shown]
	s_wait_loadcnt 0x0
	v_add_f64_e32 v[12:13], v[187:188], v[183:184]
	v_add_f64_e64 v[40:41], v[152:153], -v[193:194]
	v_mul_f64_e32 v[152:153], s[6:7], v[6:7]
	v_mul_f64_e32 v[154:155], s[14:15], v[6:7]
	;; [unrolled: 1-line block ×4, first 2 shown]
	v_fma_f64 v[160:161], v[42:43], s[36:37], v[68:69]
	v_fma_f64 v[162:163], v[42:43], s[22:23], v[76:77]
	;; [unrolled: 1-line block ×8, first 2 shown]
	v_mul_f64_e32 v[6:7], s[12:13], v[6:7]
	v_fma_f64 v[168:169], v[42:43], s[28:29], v[20:21]
	v_fma_f64 v[20:21], v[42:43], s[16:17], v[20:21]
	v_add_f64_e32 v[0:1], v[183:184], v[0:1]
	v_add_f64_e32 v[22:23], v[142:143], v[22:23]
	;; [unrolled: 1-line block ×11, first 2 shown]
	v_add_f64_e64 v[30:31], v[185:186], -v[189:190]
	v_mul_f64_e32 v[32:33], s[2:3], v[12:13]
	v_mul_f64_e32 v[34:35], s[6:7], v[12:13]
	;; [unrolled: 1-line block ×4, first 2 shown]
	v_fma_f64 v[42:43], v[40:41], s[30:31], v[152:153]
	v_fma_f64 v[144:145], v[40:41], s[34:35], v[154:155]
	;; [unrolled: 1-line block ×8, first 2 shown]
	v_mul_f64_e32 v[12:13], s[14:15], v[12:13]
	v_fma_f64 v[156:157], v[40:41], s[36:37], v[6:7]
	v_fma_f64 v[6:7], v[40:41], s[18:19], v[6:7]
	v_add_f64_e32 v[0:1], v[187:188], v[0:1]
	v_add_f64_e32 v[22:23], v[160:161], v[22:23]
	;; [unrolled: 1-line block ×11, first 2 shown]
	v_fma_f64 v[20:21], v[30:31], s[28:29], v[32:33]
	v_fma_f64 v[40:41], v[30:31], s[30:31], v[34:35]
	;; [unrolled: 1-line block ×10, first 2 shown]
	v_add_f64_e32 v[0:1], v[191:192], v[0:1]
	v_add_f64_e32 v[22:23], v[42:43], v[22:23]
	;; [unrolled: 1-line block ×22, first 2 shown]
	v_add_nc_u32_e32 v12, 0x25e0, v132
	v_add_nc_u32_e32 v13, 0x25f0, v132
	;; [unrolled: 1-line block ×5, first 2 shown]
	v_add_f64_e32 v[0:1], v[170:171], v[0:1]
	s_delay_alu instid0(VALU_DEP_1)
	v_add_f64_e32 v[0:1], v[174:175], v[0:1]
	ds_store_2addr_b64 v12, v[24:25], v[22:23] offset1:1
	ds_store_2addr_b64 v13, v[10:11], v[8:9] offset1:1
	ds_store_2addr_b64 v26, v[6:7], v[20:21] offset1:1
	ds_store_2addr_b64 v27, v[16:17], v[18:19] offset1:1
	ds_store_2addr_b64 v28, v[0:1], v[4:5] offset1:1
	ds_store_b64 v132, v[2:3] offset:9760
.LBB0_15:
	s_wait_alu 0xfffe
	s_or_b32 exec_lo, exec_lo, s1
	v_add_f64_e32 v[0:1], v[126:127], v[70:71]
	v_add_f64_e32 v[2:3], v[122:123], v[78:79]
	v_add_f64_e64 v[4:5], v[124:125], -v[48:49]
	v_add_f64_e64 v[24:25], v[120:121], -v[44:45]
	;; [unrolled: 1-line block ×3, first 2 shown]
	v_add_f64_e32 v[16:17], v[50:51], v[126:127]
	v_add_f64_e64 v[32:33], v[116:117], -v[52:53]
	v_add_f64_e64 v[36:37], v[108:109], -v[60:61]
	v_add_f64_e32 v[28:29], v[46:47], v[122:123]
	v_add_f64_e32 v[30:31], v[54:55], v[118:119]
	v_add_f64_e64 v[8:9], v[112:113], -v[64:65]
	v_add_f64_e32 v[18:19], v[58:59], v[130:131]
	v_add_f64_e32 v[22:23], v[82:83], v[106:107]
	;; [unrolled: 1-line block ×3, first 2 shown]
	v_add_f64_e64 v[40:41], v[100:101], -v[72:73]
	v_add_f64_e64 v[10:11], v[104:105], -v[80:81]
	;; [unrolled: 1-line block ×3, first 2 shown]
	v_add_f64_e32 v[20:21], v[66:67], v[114:115]
	v_add_f64_e32 v[34:35], v[62:63], v[110:111]
	v_add_f64_e64 v[44:45], v[92:93], -v[84:85]
	v_add_f64_e32 v[26:27], v[90:91], v[98:99]
	v_add_f64_e32 v[42:43], v[86:87], v[94:95]
	global_wb scope:SCOPE_SE
	s_wait_storecnt_dscnt 0x0
	s_barrier_signal -1
	s_barrier_wait -1
	global_inv scope:SCOPE_SE
	v_add_f64_e32 v[0:1], v[130:131], v[0:1]
	v_add_f64_e32 v[2:3], v[118:119], v[2:3]
	v_mul_f64_e32 v[48:49], s[24:25], v[4:5]
	v_mul_f64_e32 v[52:53], s[30:31], v[4:5]
	;; [unrolled: 1-line block ×36, first 2 shown]
	v_add_f64_e32 v[0:1], v[114:115], v[0:1]
	v_add_f64_e32 v[2:3], v[110:111], v[2:3]
	v_mul_f64_e32 v[150:151], s[28:29], v[40:41]
	v_mul_f64_e32 v[152:153], s[24:25], v[40:41]
	v_fma_f64 v[164:165], v[16:17], s[2:3], -v[56:57]
	v_fma_f64 v[56:57], v[16:17], s[2:3], v[56:57]
	v_fma_f64 v[166:167], v[16:17], s[12:13], -v[60:61]
	v_fma_f64 v[60:61], v[16:17], s[12:13], v[60:61]
	;; [unrolled: 2-line block ×3, first 2 shown]
	v_fma_f64 v[183:184], v[28:29], s[6:7], -v[120:121]
	v_fma_f64 v[185:186], v[28:29], s[2:3], -v[122:123]
	v_fma_f64 v[120:121], v[28:29], s[6:7], v[120:121]
	v_fma_f64 v[187:188], v[28:29], s[12:13], -v[124:125]
	v_fma_f64 v[189:190], v[28:29], s[14:15], -v[24:25]
	v_fma_f64 v[124:125], v[28:29], s[12:13], v[124:125]
	v_fma_f64 v[24:25], v[28:29], s[14:15], v[24:25]
	;; [unrolled: 1-line block ×3, first 2 shown]
	v_fma_f64 v[191:192], v[28:29], s[10:11], -v[118:119]
	v_fma_f64 v[28:29], v[28:29], s[10:11], v[118:119]
	v_fma_f64 v[170:171], v[18:19], s[12:13], -v[68:69]
	v_fma_f64 v[68:69], v[18:19], s[12:13], v[68:69]
	;; [unrolled: 2-line block ×4, first 2 shown]
	v_fma_f64 v[176:177], v[18:19], s[10:11], -v[6:7]
	v_fma_f64 v[118:119], v[30:31], s[6:7], -v[126:127]
	v_fma_f64 v[126:127], v[30:31], s[6:7], v[126:127]
	v_fma_f64 v[193:194], v[30:31], s[12:13], -v[128:129]
	v_fma_f64 v[128:129], v[30:31], s[12:13], v[128:129]
	;; [unrolled: 2-line block ×5, first 2 shown]
	v_fma_f64 v[6:7], v[18:19], s[10:11], v[6:7]
	v_add_f64_e32 v[0:1], v[106:107], v[0:1]
	v_add_f64_e32 v[2:3], v[102:103], v[2:3]
	v_fma_f64 v[102:103], v[16:17], s[10:11], -v[48:49]
	v_fma_f64 v[48:49], v[16:17], s[10:11], v[48:49]
	v_fma_f64 v[106:107], v[16:17], s[6:7], -v[52:53]
	v_fma_f64 v[52:53], v[16:17], s[6:7], v[52:53]
	;; [unrolled: 2-line block ×3, first 2 shown]
	v_add_f64_e32 v[56:57], v[70:71], v[56:57]
	v_add_f64_e32 v[60:61], v[70:71], v[60:61]
	;; [unrolled: 1-line block ×3, first 2 shown]
	v_mul_f64_e32 v[154:155], s[26:27], v[40:41]
	v_add_f64_e32 v[120:121], v[78:79], v[120:121]
	v_mul_f64_e32 v[40:41], s[20:21], v[40:41]
	v_fma_f64 v[18:19], v[20:21], s[2:3], -v[80:81]
	v_add_f64_e32 v[124:125], v[78:79], v[124:125]
	v_add_f64_e32 v[24:25], v[78:79], v[24:25]
	;; [unrolled: 1-line block ×3, first 2 shown]
	v_fma_f64 v[80:81], v[20:21], s[2:3], v[80:81]
	v_add_f64_e32 v[28:29], v[78:79], v[28:29]
	v_fma_f64 v[179:180], v[20:21], s[14:15], -v[84:85]
	v_fma_f64 v[84:85], v[20:21], s[14:15], v[84:85]
	v_fma_f64 v[181:182], v[20:21], s[6:7], -v[88:89]
	v_fma_f64 v[88:89], v[20:21], s[6:7], v[88:89]
	;; [unrolled: 2-line block ×4, first 2 shown]
	v_fma_f64 v[205:206], v[34:35], s[12:13], -v[36:37]
	v_mul_f64_e32 v[110:111], s[26:27], v[12:13]
	v_mul_f64_e32 v[112:113], s[22:23], v[12:13]
	;; [unrolled: 1-line block ×9, first 2 shown]
	v_add_f64_e32 v[0:1], v[98:99], v[0:1]
	v_add_f64_e32 v[2:3], v[94:95], v[2:3]
	;; [unrolled: 1-line block ×14, first 2 shown]
	v_fma_f64 v[94:95], v[20:21], s[10:11], -v[92:93]
	v_fma_f64 v[92:93], v[20:21], s[10:11], v[92:93]
	v_fma_f64 v[98:99], v[20:21], s[12:13], -v[8:9]
	v_fma_f64 v[189:190], v[34:35], s[2:3], -v[140:141]
	v_fma_f64 v[140:141], v[34:35], s[2:3], v[140:141]
	v_fma_f64 v[191:192], v[34:35], s[14:15], -v[142:143]
	v_fma_f64 v[142:143], v[34:35], s[14:15], v[142:143]
	v_fma_f64 v[34:35], v[34:35], s[12:13], v[36:37]
	v_add_f64_e32 v[56:57], v[72:73], v[56:57]
	v_add_f64_e32 v[60:61], v[76:77], v[60:61]
	v_fma_f64 v[8:9], v[20:21], s[12:13], v[8:9]
	v_add_f64_e32 v[4:5], v[6:7], v[4:5]
	v_add_f64_e32 v[24:25], v[30:31], v[24:25]
	v_add_f64_e32 v[30:31], v[130:131], v[122:123]
	v_add_f64_e32 v[28:29], v[126:127], v[28:29]
	v_mul_f64_e32 v[44:45], s[16:17], v[44:45]
	v_fma_f64 v[78:79], v[22:23], s[2:3], -v[100:101]
	v_fma_f64 v[122:123], v[38:39], s[12:13], v[148:149]
	v_fma_f64 v[126:127], v[38:39], s[2:3], v[150:151]
	;; [unrolled: 1-line block ×3, first 2 shown]
	v_fma_f64 v[20:21], v[22:23], s[12:13], -v[96:97]
	v_fma_f64 v[96:97], v[22:23], s[12:13], v[96:97]
	v_add_f64_e32 v[0:1], v[90:91], v[0:1]
	v_add_f64_e32 v[2:3], v[86:87], v[2:3]
	;; [unrolled: 1-line block ×16, first 2 shown]
	v_fma_f64 v[86:87], v[22:23], s[2:3], v[100:101]
	v_fma_f64 v[90:91], v[22:23], s[10:11], -v[104:105]
	v_fma_f64 v[100:101], v[22:23], s[10:11], v[104:105]
	v_fma_f64 v[104:105], v[22:23], s[14:15], -v[108:109]
	v_fma_f64 v[120:121], v[38:39], s[12:13], -v[148:149]
	;; [unrolled: 1-line block ×5, first 2 shown]
	v_fma_f64 v[148:149], v[38:39], s[14:15], v[154:155]
	v_fma_f64 v[150:151], v[38:39], s[6:7], -v[40:41]
	v_fma_f64 v[38:39], v[38:39], s[6:7], v[40:41]
	v_fma_f64 v[108:109], v[22:23], s[14:15], v[108:109]
	v_add_f64_e32 v[4:5], v[8:9], v[4:5]
	v_add_f64_e32 v[24:25], v[34:35], v[24:25]
	v_add_f64_e32 v[30:31], v[144:145], v[30:31]
	v_add_f64_e32 v[28:29], v[140:141], v[28:29]
	v_mad_i32_i24 v187, 0xffffffb0, v178, v132
	v_add_nc_u32_e32 v188, 0x6e, v178
	s_delay_alu instid0(VALU_DEP_2)
	v_add_nc_u32_e32 v194, 0x1800, v187
	v_add_f64_e32 v[0:1], v[82:83], v[0:1]
	v_add_f64_e32 v[2:3], v[74:75], v[2:3]
	v_fma_f64 v[74:75], v[22:23], s[6:7], -v[10:11]
	v_add_f64_e32 v[16:17], v[18:19], v[16:17]
	v_add_f64_e32 v[18:19], v[80:81], v[32:33]
	;; [unrolled: 1-line block ×9, first 2 shown]
	v_fma_f64 v[10:11], v[22:23], s[6:7], v[10:11]
	v_add_f64_e32 v[6:7], v[191:192], v[6:7]
	v_add_f64_e32 v[64:65], v[201:202], v[72:73]
	;; [unrolled: 1-line block ×7, first 2 shown]
	v_fma_f64 v[22:23], v[26:27], s[14:15], -v[110:111]
	v_fma_f64 v[82:83], v[26:27], s[14:15], v[110:111]
	v_fma_f64 v[110:111], v[26:27], s[10:11], -v[112:113]
	v_fma_f64 v[112:113], v[26:27], s[10:11], v[112:113]
	;; [unrolled: 2-line block ×4, first 2 shown]
	v_fma_f64 v[88:89], v[42:43], s[14:15], v[156:157]
	v_fma_f64 v[92:93], v[42:43], s[10:11], -v[158:159]
	v_fma_f64 v[94:95], v[42:43], s[10:11], v[158:159]
	v_fma_f64 v[98:99], v[42:43], s[12:13], -v[160:161]
	;; [unrolled: 2-line block ×3, first 2 shown]
	v_fma_f64 v[116:117], v[42:43], s[2:3], -v[44:45]
	v_add_f64_e32 v[24:25], v[38:39], v[24:25]
	v_add_f64_e32 v[30:31], v[130:131], v[30:31]
	;; [unrolled: 1-line block ×5, first 2 shown]
	v_fma_f64 v[62:63], v[26:27], s[12:13], -v[114:115]
	v_fma_f64 v[66:67], v[26:27], s[12:13], v[114:115]
	v_fma_f64 v[26:27], v[42:43], s[14:15], -v[156:157]
	v_fma_f64 v[114:115], v[42:43], s[6:7], v[162:163]
	v_fma_f64 v[42:43], v[42:43], s[2:3], v[44:45]
	v_add_f64_e32 v[16:17], v[20:21], v[16:17]
	v_add_f64_e32 v[20:21], v[78:79], v[32:33]
	;; [unrolled: 1-line block ×17, first 2 shown]
	v_add_nc_u32_e32 v190, 0x400, v187
	v_add_nc_u32_e32 v192, 0x1000, v187
	;; [unrolled: 1-line block ×5, first 2 shown]
	v_add_f64_e32 v[30:31], v[102:103], v[30:31]
	v_add_f64_e32 v[28:29], v[88:89], v[28:29]
	;; [unrolled: 1-line block ×24, first 2 shown]
	ds_load_2addr_b64 v[44:47], v187 offset1:55
	ds_load_2addr_b64 v[48:51], v187 offset0:110 offset1:165
	ds_load_b64 v[183:184], v187 offset:10560
	ds_load_2addr_b64 v[52:55], v190 offset0:92 offset1:147
	ds_load_2addr_b64 v[72:75], v192 offset0:38 offset1:93
	;; [unrolled: 1-line block ×10, first 2 shown]
	global_wb scope:SCOPE_SE
	s_wait_dscnt 0x0
	s_barrier_signal -1
	s_barrier_wait -1
	global_inv scope:SCOPE_SE
	ds_store_2addr_b64 v132, v[38:39], v[96:97] offset0:4 offset1:5
	ds_store_2addr_b64 v132, v[4:5], v[40:41] offset0:6 offset1:7
	;; [unrolled: 1-line block ×3, first 2 shown]
	ds_store_b64 v132, v[18:19] offset:80
	ds_store_2addr_b64 v137, v[6:7], v[10:11] offset1:1
	ds_store_2addr_b64 v136, v[12:13], v[94:95] offset1:1
	;; [unrolled: 1-line block ×4, first 2 shown]
	ds_store_2addr_b64 v132, v[20:21], v[32:33] offset0:2 offset1:3
	ds_store_2addr_b64 v132, v[0:1], v[16:17] offset1:1
	ds_store_2addr_b64 v133, v[2:3], v[26:27] offset1:1
	ds_store_b64 v132, v[28:29] offset:4920
	s_and_saveexec_b32 s28, s0
	s_cbranch_execz .LBB0_17
; %bb.16:
	s_clause 0x6
	scratch_load_b128 v[4:7], off, off offset:144 th:TH_LOAD_LU
	scratch_load_b128 v[126:129], off, off offset:16 th:TH_LOAD_LU
	;; [unrolled: 1-line block ×7, first 2 shown]
	s_mov_b32 s22, 0xf8bb580b
	s_mov_b32 s14, 0xbb3a28a1
	s_mov_b32 s18, 0xfd768dbf
	s_mov_b32 s12, 0x43842ef
	s_mov_b32 s23, 0xbfe14ced
	s_mov_b32 s11, 0xbfed1bb4
	s_mov_b32 s10, 0x8eee2c13
	s_mov_b32 s15, 0xbfe82f19
	s_mov_b32 s19, 0xbfd207e7
	s_mov_b32 s13, 0xbfefac9e
	s_mov_b32 s6, 0x8764f0ba
	s_mov_b32 s0, 0xd9c712b6
	s_mov_b32 s16, 0x7f775887
	s_mov_b32 s20, 0x9bcd5057
	s_mov_b32 s7, 0x3feaeb8c
	s_mov_b32 s1, 0x3fda9628
	s_mov_b32 s17, 0xbfe4f49e
	s_mov_b32 s21, 0xbfeeb42a
	s_mov_b32 s31, 0x3fd207e7
	s_mov_b32 s27, 0x3fefac9e
	s_mov_b32 s25, 0x3fe14ced
	s_wait_alu 0xfffe
	s_mov_b32 s30, s18
	s_mov_b32 s26, s12
	s_mov_b32 s24, s22
	scratch_load_b128 v[130:133], off, off offset:32 th:TH_LOAD_LU ; 16-byte Folded Reload
	s_wait_loadcnt 0x7
	v_add_f64_e32 v[0:1], v[6:7], v[14:15]
	s_wait_loadcnt 0x6
	v_add_f64_e64 v[2:3], v[4:5], -v[126:127]
	scratch_load_b128 v[124:127], off, off th:TH_LOAD_LU ; 16-byte Folded Reload
	v_add_f64_e32 v[6:7], v[128:129], v[6:7]
	s_wait_loadcnt 0x5
	v_add_f64_e32 v[0:1], v[20:21], v[0:1]
	v_mul_f64_e32 v[8:9], s[22:23], v[2:3]
	v_mul_f64_e32 v[10:11], s[10:11], v[2:3]
	;; [unrolled: 1-line block ×5, first 2 shown]
	s_wait_loadcnt 0x4
	v_add_f64_e32 v[0:1], v[40:41], v[0:1]
	v_fma_f64 v[30:31], v[6:7], s[6:7], -v[8:9]
	v_fma_f64 v[32:33], v[6:7], s[0:1], -v[10:11]
	v_fma_f64 v[10:11], v[6:7], s[0:1], v[10:11]
	v_fma_f64 v[34:35], v[6:7], s[16:17], -v[12:13]
	v_fma_f64 v[12:13], v[6:7], s[16:17], v[12:13]
	;; [unrolled: 2-line block ×3, first 2 shown]
	s_wait_loadcnt 0x3
	v_add_f64_e32 v[0:1], v[108:109], v[0:1]
	v_add_f64_e32 v[10:11], v[14:15], v[10:11]
	;; [unrolled: 1-line block ×3, first 2 shown]
	s_delay_alu instid0(VALU_DEP_4) | instskip(NEXT) | instid1(VALU_DEP_4)
	v_add_f64_e32 v[16:17], v[14:15], v[16:17]
	v_add_f64_e32 v[0:1], v[136:137], v[0:1]
	s_wait_loadcnt 0x0
	v_add_f64_e64 v[4:5], v[18:19], -v[124:125]
	v_add_f64_e64 v[18:19], v[38:39], -v[130:131]
	v_fma_f64 v[38:39], v[6:7], s[2:3], -v[2:3]
	v_fma_f64 v[2:3], v[6:7], s[2:3], v[2:3]
	v_fma_f64 v[6:7], v[6:7], s[6:7], v[8:9]
	v_add_f64_e32 v[8:9], v[132:133], v[40:41]
	v_add_f64_e64 v[40:41], v[106:107], -v[140:141]
	scratch_load_b128 v[138:141], off, off offset:64 th:TH_LOAD_LU ; 16-byte Folded Reload
	v_add_f64_e32 v[20:21], v[126:127], v[20:21]
	v_mul_f64_e32 v[22:23], s[10:11], v[4:5]
	v_mul_f64_e32 v[24:25], s[14:15], v[4:5]
	s_wait_alu 0xfffe
	v_mul_f64_e32 v[26:27], s[30:31], v[4:5]
	v_mul_f64_e32 v[28:29], s[26:27], v[4:5]
	v_mul_f64_e32 v[4:5], s[24:25], v[4:5]
	s_mov_b32 s11, 0x3fed1bb4
	v_mul_f64_e32 v[42:43], s[12:13], v[18:19]
	v_mul_f64_e32 v[92:93], s[30:31], v[18:19]
	;; [unrolled: 1-line block ×4, first 2 shown]
	s_wait_alu 0xfffe
	v_mul_f64_e32 v[18:19], s[10:11], v[18:19]
	v_add_f64_e32 v[2:3], v[14:15], v[2:3]
	v_add_f64_e32 v[6:7], v[14:15], v[6:7]
	v_mul_f64_e32 v[110:111], s[26:27], v[40:41]
	v_mul_f64_e32 v[112:113], s[22:23], v[40:41]
	;; [unrolled: 1-line block ×3, first 2 shown]
	v_fma_f64 v[98:99], v[20:21], s[0:1], -v[22:23]
	v_fma_f64 v[22:23], v[20:21], s[0:1], v[22:23]
	v_fma_f64 v[100:101], v[20:21], s[16:17], -v[24:25]
	v_fma_f64 v[24:25], v[20:21], s[16:17], v[24:25]
	;; [unrolled: 2-line block ×5, first 2 shown]
	v_add_f64_e32 v[20:21], v[14:15], v[30:31]
	v_add_f64_e32 v[30:31], v[14:15], v[32:33]
	;; [unrolled: 1-line block ×6, first 2 shown]
	v_mul_f64_e32 v[108:109], s[14:15], v[40:41]
	v_mul_f64_e32 v[40:41], s[10:11], v[40:41]
	v_fma_f64 v[116:117], v[8:9], s[2:3], -v[42:43]
	v_fma_f64 v[42:43], v[8:9], s[2:3], v[42:43]
	v_fma_f64 v[118:119], v[8:9], s[20:21], -v[92:93]
	v_fma_f64 v[92:93], v[8:9], s[20:21], v[92:93]
	;; [unrolled: 2-line block ×5, first 2 shown]
	v_add_f64_e32 v[6:7], v[22:23], v[6:7]
	v_add_f64_e32 v[10:11], v[24:25], v[10:11]
	;; [unrolled: 1-line block ×10, first 2 shown]
	v_fma_f64 v[100:101], v[14:15], s[2:3], -v[110:111]
	v_fma_f64 v[98:99], v[14:15], s[16:17], v[108:109]
	v_fma_f64 v[104:105], v[14:15], s[6:7], -v[112:113]
	v_fma_f64 v[106:107], v[14:15], s[6:7], v[112:113]
	;; [unrolled: 2-line block ×3, first 2 shown]
	v_fma_f64 v[110:111], v[14:15], s[20:21], v[114:115]
	v_add_f64_e32 v[6:7], v[42:43], v[6:7]
	v_add_f64_e32 v[10:11], v[92:93], v[10:11]
	;; [unrolled: 1-line block ×16, first 2 shown]
	s_wait_loadcnt 0x0
	v_add_f64_e32 v[0:1], v[140:141], v[0:1]
	v_add_f64_e64 v[38:39], v[134:135], -v[138:139]
	v_add_f64_e32 v[22:23], v[140:141], v[136:137]
	s_delay_alu instid0(VALU_DEP_3) | instskip(NEXT) | instid1(VALU_DEP_3)
	v_add_f64_e32 v[0:1], v[142:143], v[0:1]
	v_mul_f64_e32 v[26:27], s[18:19], v[38:39]
	v_mul_f64_e32 v[30:31], s[24:25], v[38:39]
	;; [unrolled: 1-line block ×5, first 2 shown]
	v_fma_f64 v[38:39], v[14:15], s[16:17], -v[108:109]
	v_fma_f64 v[108:109], v[14:15], s[20:21], -v[114:115]
	v_fma_f64 v[14:15], v[14:15], s[0:1], v[40:41]
	v_add_f64_e32 v[0:1], v[132:133], v[0:1]
	v_fma_f64 v[8:9], v[22:23], s[20:21], -v[26:27]
	v_fma_f64 v[40:41], v[22:23], s[6:7], -v[30:31]
	v_fma_f64 v[26:27], v[22:23], s[20:21], v[26:27]
	v_fma_f64 v[92:93], v[22:23], s[2:3], -v[34:35]
	v_fma_f64 v[94:95], v[22:23], s[0:1], -v[36:37]
	v_add_f64_e32 v[18:19], v[38:39], v[18:19]
	v_add_f64_e32 v[24:25], v[108:109], v[24:25]
	v_fma_f64 v[30:31], v[22:23], s[6:7], v[30:31]
	v_fma_f64 v[42:43], v[22:23], s[16:17], -v[32:33]
	v_fma_f64 v[32:33], v[22:23], s[16:17], v[32:33]
	v_fma_f64 v[34:35], v[22:23], s[2:3], v[34:35]
	;; [unrolled: 1-line block ×3, first 2 shown]
	v_add_f64_e32 v[4:5], v[14:15], v[4:5]
	v_add_f64_e32 v[14:15], v[104:105], v[16:17]
	;; [unrolled: 1-line block ×13, first 2 shown]
	v_mad_u32_u24 v22, 0x58, v188, 0
	v_add_f64_e32 v[0:1], v[128:129], v[0:1]
	ds_store_2addr_b64 v22, v[18:19], v[20:21] offset0:4 offset1:5
	ds_store_2addr_b64 v22, v[4:5], v[12:13] offset0:6 offset1:7
	ds_store_2addr_b64 v22, v[0:1], v[8:9] offset1:1
	ds_store_2addr_b64 v22, v[16:17], v[14:15] offset0:2 offset1:3
	ds_store_2addr_b64 v22, v[2:3], v[10:11] offset0:8 offset1:9
	ds_store_b64 v22, v[6:7] offset:80
.LBB0_17:
	s_wait_alu 0xfffe
	s_or_b32 exec_lo, exec_lo, s28
	v_and_b32_e32 v0, 0xff, v178
	v_dual_mov_b32 v180, 0 :: v_dual_add_nc_u32 v189, 0xdc, v178
	v_and_b32_e32 v205, 0xff, v188
	v_add_nc_u32_e32 v196, 55, v178
	s_delay_alu instid0(VALU_DEP_4) | instskip(NEXT) | instid1(VALU_DEP_4)
	v_mul_lo_u16 v0, 0x75, v0
	v_and_b32_e32 v181, 0xffff, v189
	v_add_nc_u32_e32 v197, 0xa5, v178
	v_mul_lo_u16 v3, 0x75, v205
	global_wb scope:SCOPE_SE
	s_wait_dscnt 0x0
	v_lshrrev_b16 v0, 8, v0
	v_mul_u32_u24_e32 v2, 0xba2f, v181
	v_and_b32_e32 v182, 0xff, v197
	s_barrier_signal -1
	s_barrier_wait -1
	v_sub_nc_u16 v1, v178, v0
	v_lshrrev_b32_e32 v206, 19, v2
	v_and_b32_e32 v2, 0xff, v196
	v_mul_lo_u16 v5, 0x75, v182
	global_inv scope:SCOPE_SE
	v_lshrrev_b16 v1, 1, v1
	v_lshlrev_b32_e32 v179, 2, v178
	v_mul_lo_u16 v2, 0x75, v2
	v_lshrrev_b16 v5, 8, v5
	v_mul_lo_u16 v205, 0x95, v205
	v_and_b32_e32 v1, 0x7f, v1
	v_mul_u32_u24_e32 v181, 0x29e5, v181
	v_lshlrev_b64_e32 v[176:177], 4, v[179:180]
	v_mul_lo_u16 v179, 0x95, v182
	v_lshrrev_b16 v211, 13, v205
	v_add_nc_u16 v0, v1, v0
	v_lshrrev_b16 v1, 8, v3
	v_lshrrev_b32_e32 v205, 16, v181
	v_add_co_u32 v181, s0, s4, v176
	s_delay_alu instid0(VALU_DEP_4)
	v_lshrrev_b16 v207, 3, v0
	v_mul_lo_u16 v0, v206, 11
	v_sub_nc_u16 v3, v188, v1
	s_wait_alu 0xf1ff
	v_add_co_ci_u32_e64 v182, s0, s5, v177, s0
	v_mul_lo_u16 v4, v207, 11
	v_sub_nc_u16 v0, v189, v0
	v_lshrrev_b16 v3, 1, v3
	v_mul_u32_u24_e32 v206, 0x1b8, v206
	v_and_b32_e32 v213, 0xffff, v207
	v_sub_nc_u16 v4, v178, v4
	v_and_b32_e32 v208, 0xffff, v0
	v_lshrrev_b16 v0, 8, v2
	v_and_b32_e32 v2, 0x7f, v3
	s_mov_b32 s10, 0x134454ff
	v_and_b32_e32 v199, 0xff, v4
	v_lshlrev_b32_e32 v3, 6, v208
	v_sub_nc_u16 v4, v196, v0
	v_add_nc_u16 v1, v2, v1
	v_lshlrev_b32_e32 v208, 3, v208
	v_lshlrev_b32_e32 v2, 6, v199
	s_clause 0x1
	global_load_b128 v[164:167], v3, s[4:5] offset:16
	global_load_b128 v[148:151], v3, s[4:5] offset:32
	v_lshrrev_b16 v4, 1, v4
	v_lshrrev_b16 v201, 3, v1
	s_clause 0x2
	global_load_b128 v[140:143], v2, s[4:5] offset:32
	global_load_b128 v[160:163], v3, s[4:5]
	global_load_b128 v[132:135], v3, s[4:5] offset:48
	v_and_b32_e32 v1, 0x7f, v4
	v_sub_nc_u16 v4, v197, v5
	s_clause 0x1
	global_load_b128 v[144:147], v2, s[4:5]
	global_load_b128 v[104:107], v2, s[4:5] offset:16
	v_mul_lo_u16 v6, v201, 11
	v_add_nc_u16 v0, v1, v0
	v_lshrrev_b16 v1, 1, v4
	v_add3_u32 v247, 0, v206, v208
	v_mul_u32_u24_e32 v208, 0x1b8, v213
	v_sub_nc_u16 v4, v188, v6
	v_lshrrev_b16 v202, 3, v0
	v_and_b32_e32 v0, 0x7f, v1
	v_lshlrev_b32_e32 v199, 3, v199
	s_mov_b32 s11, 0xbfee6f0e
	v_and_b32_e32 v203, 0xff, v4
	v_mul_lo_u16 v1, v202, 11
	v_add_nc_u16 v0, v0, v5
	v_and_b32_e32 v225, 0xffff, v202
	v_add3_u32 v248, 0, v208, v199
	v_lshlrev_b32_e32 v3, 6, v203
	v_sub_nc_u16 v1, v196, v1
	v_lshrrev_b16 v204, 3, v0
	s_clause 0x3
	global_load_b128 v[100:103], v2, s[4:5] offset:48
	global_load_b128 v[24:27], v3, s[4:5] offset:16
	global_load_b128 v[112:115], v3, s[4:5]
	global_load_b128 v[96:99], v3, s[4:5] offset:32
	v_and_b32_e32 v198, 0xff, v1
	v_mul_lo_u16 v0, v204, 11
	v_lshlrev_b32_e32 v213, 3, v203
	v_and_b32_e32 v226, 0xffff, v204
	s_mov_b32 s13, 0x3fee6f0e
	v_lshlrev_b32_e32 v1, 6, v198
	v_sub_nc_u16 v0, v197, v0
	s_clause 0x3
	global_load_b128 v[108:111], v3, s[4:5] offset:48
	global_load_b128 v[92:95], v1, s[4:5]
	global_load_b128 v[40:43], v1, s[4:5] offset:16
	global_load_b128 v[36:39], v1, s[4:5] offset:32
	v_and_b32_e32 v200, 0xff, v0
	s_wait_alu 0xfffe
	s_mov_b32 s12, s10
	s_mov_b32 s6, 0x4755a5e
	;; [unrolled: 1-line block ×4, first 2 shown]
	v_lshlrev_b32_e32 v0, 6, v200
	s_clause 0x4
	global_load_b128 v[32:35], v1, s[4:5] offset:48
	global_load_b128 v[28:31], v0, s[4:5]
	global_load_b128 v[20:23], v0, s[4:5] offset:16
	global_load_b128 v[16:19], v0, s[4:5] offset:32
	;; [unrolled: 1-line block ×3, first 2 shown]
	ds_load_2addr_b64 v[4:7], v187 offset1:55
	ds_load_2addr_b64 v[8:11], v190 offset0:92 offset1:147
	ds_load_2addr_b64 v[136:139], v192 offset0:38 offset1:93
	ds_load_2addr_b64 v[172:175], v194 offset0:2 offset1:57
	ds_load_2addr_b64 v[124:127], v193 offset0:76 offset1:131
	ds_load_2addr_b64 v[168:171], v191 offset0:74 offset1:129
	ds_load_2addr_b64 v[156:159], v194 offset0:112 offset1:167
	ds_load_2addr_b64 v[0:3], v187 offset0:110 offset1:165
	ds_load_2addr_b64 v[120:123], v192 offset0:148 offset1:203
	ds_load_2addr_b64 v[116:119], v193 offset0:186 offset1:241
	ds_load_2addr_b64 v[152:155], v191 offset0:184 offset1:239
	ds_load_2addr_b64 v[128:131], v195 offset0:94 offset1:149
	ds_load_b64 v[185:186], v187 offset:10560
	s_wait_alu 0xfffe
	s_mov_b32 s14, s6
	s_mov_b32 s2, 0x372fe950
	;; [unrolled: 1-line block ×3, first 2 shown]
	global_wb scope:SCOPE_SE
	s_wait_loadcnt_dscnt 0x0
	s_barrier_signal -1
	s_barrier_wait -1
	global_inv scope:SCOPE_SE
	v_mul_f64_e32 v[176:177], v[172:173], v[166:167]
	v_mul_f64_e32 v[209:210], v[88:89], v[166:167]
	v_sub_nc_u16 v167, v189, v205
	v_mul_lo_u16 v166, v211, 55
	v_mul_f64_e32 v[211:212], v[174:175], v[142:143]
	v_mul_f64_e32 v[142:143], v[90:91], v[142:143]
	;; [unrolled: 1-line block ×3, first 2 shown]
	v_lshrrev_b16 v246, 1, v167
	v_and_b32_e32 v167, 0xffff, v201
	v_mul_f64_e32 v[134:135], v[183:184], v[134:135]
	v_mul_f64_e32 v[201:202], v[154:155], v[162:163]
	;; [unrolled: 1-line block ×4, first 2 shown]
	v_mul_u32_u24_e32 v167, 0x1b8, v167
	v_mul_f64_e32 v[150:151], v[66:67], v[150:151]
	v_mul_f64_e32 v[215:216], v[136:137], v[106:107]
	;; [unrolled: 1-line block ×3, first 2 shown]
	s_delay_alu instid0(VALU_DEP_4)
	v_add3_u32 v249, 0, v167, v213
	v_mul_f64_e32 v[213:214], v[10:11], v[146:147]
	v_mul_f64_e32 v[146:147], v[54:55], v[146:147]
	;; [unrolled: 1-line block ×10, first 2 shown]
	v_fma_f64 v[88:89], v[88:89], v[164:165], v[176:177]
	v_fma_f64 v[164:165], v[172:173], v[164:165], -v[209:210]
	v_mul_f64_e32 v[172:173], v[116:117], v[110:111]
	v_mul_f64_e32 v[110:111], v[56:57], v[110:111]
	v_fma_f64 v[90:91], v[90:91], v[140:141], v[211:212]
	v_mul_f64_e32 v[176:177], v[168:169], v[94:95]
	v_mul_f64_e32 v[94:95], v[84:85], v[94:95]
	v_fma_f64 v[140:141], v[174:175], v[140:141], -v[142:143]
	v_mul_f64_e32 v[142:143], v[138:139], v[42:43]
	v_mul_f64_e32 v[42:43], v[74:75], v[42:43]
	;; [unrolled: 1-line block ×4, first 2 shown]
	v_fma_f64 v[183:184], v[183:184], v[132:133], v[206:207]
	v_mul_f64_e32 v[206:207], v[126:127], v[34:35]
	v_fma_f64 v[132:133], v[185:186], v[132:133], -v[134:135]
	v_mul_f64_e32 v[34:35], v[70:71], v[34:35]
	v_mul_f64_e32 v[134:135], v[152:153], v[30:31]
	;; [unrolled: 1-line block ×3, first 2 shown]
	v_fma_f64 v[78:79], v[78:79], v[160:161], v[201:202]
	v_fma_f64 v[154:155], v[154:155], v[160:161], -v[162:163]
	v_mul_f64_e32 v[160:161], v[122:123], v[22:23]
	v_mul_f64_e32 v[22:23], v[62:63], v[22:23]
	v_fma_f64 v[66:67], v[66:67], v[148:149], v[203:204]
	v_fma_f64 v[130:131], v[130:131], v[148:149], -v[150:151]
	v_mul_f64_e32 v[148:149], v[128:129], v[18:19]
	v_mul_f64_e32 v[18:19], v[64:65], v[18:19]
	;; [unrolled: 4-line block ×3, first 2 shown]
	v_fma_f64 v[72:73], v[72:73], v[104:105], v[215:216]
	v_fma_f64 v[104:105], v[136:137], v[104:105], -v[106:107]
	v_fma_f64 v[68:69], v[68:69], v[100:101], v[217:218]
	v_fma_f64 v[100:101], v[124:125], v[100:101], -v[102:103]
	;; [unrolled: 2-line block ×6, first 2 shown]
	v_mul_u32_u24_e32 v146, 0x1b8, v225
	v_fma_f64 v[84:85], v[84:85], v[92:93], v[176:177]
	v_fma_f64 v[92:93], v[168:169], v[92:93], -v[94:95]
	v_mul_u32_u24_e32 v147, 0x1b8, v226
	v_fma_f64 v[74:75], v[74:75], v[40:41], v[142:143]
	v_fma_f64 v[40:41], v[138:139], v[40:41], -v[42:43]
	v_fma_f64 v[42:43], v[80:81], v[36:37], v[174:175]
	v_fma_f64 v[36:37], v[156:157], v[36:37], -v[38:39]
	v_lshlrev_b32_e32 v150, 3, v198
	v_fma_f64 v[38:39], v[70:71], v[32:33], v[206:207]
	v_lshlrev_b32_e32 v151, 3, v200
	v_fma_f64 v[32:33], v[126:127], v[32:33], -v[34:35]
	v_fma_f64 v[34:35], v[76:77], v[28:29], v[134:135]
	v_fma_f64 v[28:29], v[152:153], v[28:29], -v[30:31]
	v_add_f64_e32 v[80:81], v[78:79], v[183:184]
	v_add_f64_e64 v[94:95], v[88:89], -v[78:79]
	v_fma_f64 v[30:31], v[62:63], v[20:21], v[160:161]
	v_fma_f64 v[20:21], v[122:123], v[20:21], -v[22:23]
	v_add_f64_e64 v[98:99], v[66:67], -v[183:184]
	v_add_f64_e64 v[120:121], v[130:131], -v[132:133]
	v_fma_f64 v[22:23], v[64:65], v[16:17], v[148:149]
	v_fma_f64 v[16:17], v[128:129], v[16:17], -v[18:19]
	v_add_f64_e32 v[122:123], v[44:45], v[54:55]
	v_add3_u32 v204, 0, v146, v150
	v_fma_f64 v[18:19], v[58:59], v[12:13], v[144:145]
	v_add_f64_e32 v[58:59], v[88:89], v[66:67]
	v_fma_f64 v[12:13], v[118:119], v[12:13], -v[14:15]
	v_add_f64_e64 v[118:119], v[164:165], -v[154:155]
	v_add3_u32 v250, 0, v147, v151
	v_add_f64_e32 v[108:109], v[164:165], v[130:131]
	v_add_f64_e32 v[116:117], v[154:155], v[132:133]
	;; [unrolled: 1-line block ×4, first 2 shown]
	v_add_f64_e64 v[62:63], v[154:155], -v[132:133]
	v_add_f64_e64 v[70:71], v[78:79], -v[88:89]
	;; [unrolled: 1-line block ×3, first 2 shown]
	v_add_f64_e32 v[106:107], v[8:9], v[154:155]
	v_add_f64_e64 v[112:113], v[154:155], -v[164:165]
	v_add_f64_e64 v[114:115], v[132:133], -v[130:131]
	v_add_f64_e32 v[124:125], v[72:73], v[90:91]
	v_add_f64_e64 v[134:135], v[54:55], -v[72:73]
	v_add_f64_e64 v[136:137], v[68:69], -v[90:91]
	;; [unrolled: 3-line block ×5, first 2 shown]
	v_add_f64_e64 v[208:209], v[102:103], -v[24:25]
	v_add_f64_e64 v[210:211], v[96:97], -v[82:83]
	;; [unrolled: 1-line block ×3, first 2 shown]
	v_add_f64_e32 v[234:235], v[6:7], v[92:93]
	v_add_f64_e32 v[236:237], v[40:41], v[36:37]
	v_add_f64_e64 v[238:239], v[92:93], -v[40:41]
	v_add_f64_e64 v[242:243], v[36:37], -v[32:33]
	v_add_f64_e32 v[244:245], v[30:31], v[22:23]
	v_add_f64_e32 v[94:95], v[94:95], v[98:99]
	;; [unrolled: 1-line block ×3, first 2 shown]
	v_add_f64_e64 v[126:127], v[10:11], -v[100:101]
	v_add_f64_e32 v[98:99], v[34:35], v[18:19]
	v_fma_f64 v[58:59], v[58:59], -0.5, v[52:53]
	v_fma_f64 v[52:53], v[80:81], -0.5, v[52:53]
	v_add_f64_e32 v[80:81], v[92:93], v[32:33]
	v_add_f64_e64 v[92:93], v[40:41], -v[92:93]
	v_add_f64_e64 v[10:11], v[104:105], -v[10:11]
	;; [unrolled: 1-line block ×3, first 2 shown]
	v_add_f64_e32 v[175:176], v[86:87], v[56:57]
	v_add_f64_e32 v[200:201], v[0:1], v[102:103]
	;; [unrolled: 1-line block ×8, first 2 shown]
	v_add_f64_e64 v[150:151], v[72:73], -v[90:91]
	v_add_f64_e32 v[118:119], v[118:119], v[120:121]
	v_add_f64_e32 v[120:121], v[2:3], v[28:29]
	;; [unrolled: 1-line block ×4, first 2 shown]
	v_add_f64_e64 v[128:129], v[104:105], -v[140:141]
	v_add_f64_e64 v[185:186], v[60:61], -v[86:87]
	;; [unrolled: 1-line block ×3, first 2 shown]
	v_fma_f64 v[108:109], v[108:109], -0.5, v[8:9]
	v_fma_f64 v[8:9], v[116:117], -0.5, v[8:9]
	v_add_f64_e32 v[116:117], v[50:51], v[34:35]
	v_add_f64_e32 v[104:105], v[146:147], v[104:105]
	;; [unrolled: 1-line block ×3, first 2 shown]
	v_add_f64_e64 v[64:65], v[164:165], -v[130:131]
	v_add_f64_e64 v[78:79], v[78:79], -v[183:184]
	;; [unrolled: 1-line block ×7, first 2 shown]
	v_add_f64_e32 v[14:15], v[14:15], v[88:89]
	v_add_f64_e64 v[88:89], v[34:35], -v[30:31]
	v_add_f64_e32 v[70:71], v[70:71], v[76:77]
	v_add_f64_e64 v[76:77], v[18:19], -v[22:23]
	;; [unrolled: 2-line block ×7, first 2 shown]
	v_add_f64_e64 v[28:29], v[28:29], -v[12:13]
	v_add_f64_e32 v[171:172], v[171:172], v[173:174]
	v_add_f64_e64 v[173:174], v[20:21], -v[16:17]
	v_fma_f64 v[124:125], v[124:125], -0.5, v[44:45]
	v_fma_f64 v[44:45], v[138:139], -0.5, v[44:45]
	;; [unrolled: 1-line block ×4, first 2 shown]
	v_add_f64_e32 v[162:163], v[208:209], v[210:211]
	v_fma_f64 v[208:209], v[236:237], -0.5, v[6:7]
	v_fma_f64 v[6:7], v[80:81], -0.5, v[6:7]
	v_add_f64_e32 v[80:81], v[92:93], v[242:243]
	v_fma_f64 v[92:93], v[244:245], -0.5, v[50:51]
	v_fma_f64 v[50:51], v[98:99], -0.5, v[50:51]
	;; [unrolled: 1-line block ×3, first 2 shown]
	v_add_f64_e64 v[169:170], v[24:25], -v[82:83]
	v_add_f64_e64 v[86:87], v[86:87], -v[56:57]
	;; [unrolled: 1-line block ×6, first 2 shown]
	v_add_f64_e32 v[10:11], v[10:11], v[158:159]
	v_add_f64_e64 v[158:159], v[16:17], -v[12:13]
	v_fma_f64 v[48:49], v[175:176], -0.5, v[48:49]
	v_add_f64_e32 v[24:25], v[200:201], v[24:25]
	v_fma_f64 v[156:157], v[202:203], -0.5, v[0:1]
	v_fma_f64 v[175:176], v[218:219], -0.5, v[46:47]
	v_add_f64_e32 v[40:41], v[234:235], v[40:41]
	v_add_f64_e64 v[206:207], v[60:61], -v[26:27]
	v_add_f64_e32 v[60:61], v[160:161], v[60:61]
	v_add_f64_e64 v[160:161], v[74:75], -v[42:43]
	v_add_f64_e32 v[74:75], v[216:217], v[74:75]
	v_fma_f64 v[46:47], v[228:229], -0.5, v[46:47]
	v_fma_f64 v[0:1], v[212:213], -0.5, v[0:1]
	v_add_f64_e64 v[34:35], v[34:35], -v[18:19]
	v_add_f64_e32 v[20:21], v[120:121], v[20:21]
	v_fma_f64 v[98:99], v[122:123], -0.5, v[2:3]
	v_add_f64_e32 v[185:186], v[185:186], v[198:199]
	v_add_f64_e64 v[198:199], v[30:31], -v[22:23]
	v_add_f64_e32 v[30:31], v[116:117], v[30:31]
	v_fma_f64 v[2:3], v[146:147], -0.5, v[2:3]
	v_add_f64_e32 v[102:103], v[102:103], v[214:215]
	v_add_f64_e32 v[76:77], v[88:89], v[76:77]
	;; [unrolled: 1-line block ×5, first 2 shown]
	v_fma_f64 v[66:67], v[62:63], s[10:11], v[58:59]
	v_fma_f64 v[58:59], v[62:63], s[12:13], v[58:59]
	;; [unrolled: 1-line block ×4, first 2 shown]
	v_add_f64_e32 v[106:107], v[106:107], v[130:131]
	v_fma_f64 v[122:123], v[78:79], s[12:13], v[108:109]
	v_fma_f64 v[108:109], v[78:79], s[10:11], v[108:109]
	;; [unrolled: 1-line block ×4, first 2 shown]
	v_add_f64_e32 v[72:73], v[72:73], v[90:91]
	v_fma_f64 v[90:91], v[126:127], s[10:11], v[124:125]
	v_fma_f64 v[136:137], v[128:129], s[12:13], v[44:45]
	v_add_f64_e32 v[104:105], v[104:105], v[140:141]
	v_fma_f64 v[140:141], v[54:55], s[12:13], v[138:139]
	v_fma_f64 v[212:213], v[28:29], s[10:11], v[92:93]
	v_fma_f64 v[214:215], v[173:174], s[12:13], v[50:51]
	v_fma_f64 v[50:51], v[173:174], s[10:11], v[50:51]
	v_fma_f64 v[92:93], v[28:29], s[12:13], v[92:93]
	v_fma_f64 v[44:45], v[128:129], s[10:11], v[44:45]
	v_fma_f64 v[144:145], v[150:151], s[10:11], v[4:5]
	v_fma_f64 v[4:5], v[150:151], s[12:13], v[4:5]
	v_fma_f64 v[124:125], v[126:127], s[12:13], v[124:125]
	v_fma_f64 v[138:139], v[54:55], s[10:11], v[138:139]
	v_add_f64_e64 v[226:227], v[38:39], -v[42:43]
	v_add_f64_e64 v[240:241], v[32:33], -v[36:37]
	v_add_f64_e32 v[116:117], v[154:155], v[158:159]
	v_add_f64_e32 v[24:25], v[24:25], v[82:83]
	v_fma_f64 v[82:83], v[86:87], s[12:13], v[156:157]
	v_fma_f64 v[154:155], v[86:87], s[10:11], v[156:157]
	;; [unrolled: 1-line block ×3, first 2 shown]
	v_add_f64_e32 v[36:37], v[40:41], v[36:37]
	v_fma_f64 v[40:41], v[84:85], s[12:13], v[208:209]
	v_add_f64_e64 v[232:233], v[42:43], -v[38:39]
	v_fma_f64 v[158:159], v[222:223], s[12:13], v[46:47]
	v_fma_f64 v[46:47], v[222:223], s[10:11], v[46:47]
	v_add_f64_e32 v[42:43], v[74:75], v[42:43]
	v_fma_f64 v[74:75], v[84:85], s[10:11], v[208:209]
	v_fma_f64 v[208:209], v[160:161], s[10:11], v[6:7]
	;; [unrolled: 1-line block ×4, first 2 shown]
	v_add_f64_e32 v[26:27], v[60:61], v[26:27]
	v_fma_f64 v[60:61], v[167:168], s[10:11], v[148:149]
	v_fma_f64 v[146:147], v[167:168], s[12:13], v[148:149]
	;; [unrolled: 1-line block ×6, first 2 shown]
	v_add_f64_e32 v[16:17], v[20:21], v[16:17]
	v_fma_f64 v[20:21], v[34:35], s[12:13], v[98:99]
	v_add_f64_e32 v[22:23], v[30:31], v[22:23]
	v_fma_f64 v[30:31], v[34:35], s[10:11], v[98:99]
	v_fma_f64 v[98:99], v[198:199], s[10:11], v[2:3]
	;; [unrolled: 1-line block ×4, first 2 shown]
	s_wait_alu 0xfffe
	v_fma_f64 v[58:59], v[64:65], s[14:15], v[58:59]
	v_fma_f64 v[64:65], v[62:63], s[6:7], v[120:121]
	v_fma_f64 v[52:53], v[62:63], s[14:15], v[52:53]
	v_add_f64_e32 v[62:63], v[106:107], v[132:133]
	v_fma_f64 v[106:107], v[110:111], s[14:15], v[122:123]
	v_fma_f64 v[108:109], v[110:111], s[6:7], v[108:109]
	;; [unrolled: 1-line block ×11, first 2 shown]
	v_add_f64_e32 v[68:69], v[72:73], v[68:69]
	v_add_f64_e32 v[72:73], v[104:105], v[100:101]
	v_fma_f64 v[104:105], v[54:55], s[14:15], v[144:145]
	v_fma_f64 v[4:5], v[54:55], s[6:7], v[4:5]
	v_fma_f64 v[90:91], v[128:129], s[14:15], v[124:125]
	v_fma_f64 v[100:101], v[150:151], s[6:7], v[138:139]
	v_add_f64_e32 v[200:201], v[224:225], v[226:227]
	v_add_f64_e32 v[210:211], v[238:239], v[240:241]
	v_fma_f64 v[124:125], v[222:223], s[6:7], v[156:157]
	v_fma_f64 v[132:133], v[173:174], s[6:7], v[212:213]
	;; [unrolled: 1-line block ×3, first 2 shown]
	v_add_f64_e32 v[202:203], v[230:231], v[232:233]
	v_fma_f64 v[126:127], v[220:221], s[6:7], v[158:159]
	v_fma_f64 v[46:47], v[220:221], s[14:15], v[46:47]
	v_add_f64_e32 v[38:39], v[42:43], v[38:39]
	v_fma_f64 v[42:43], v[160:161], s[6:7], v[74:75]
	v_fma_f64 v[74:75], v[84:85], s[14:15], v[208:209]
	;; [unrolled: 1-line block ×11, first 2 shown]
	v_add_f64_e32 v[26:27], v[26:27], v[56:57]
	v_fma_f64 v[56:57], v[206:207], s[6:7], v[154:155]
	v_fma_f64 v[20:21], v[198:199], s[14:15], v[20:21]
	v_add_f64_e32 v[18:19], v[22:23], v[18:19]
	v_fma_f64 v[22:23], v[198:199], s[6:7], v[30:31]
	v_fma_f64 v[30:31], v[34:35], s[14:15], v[98:99]
	;; [unrolled: 1-line block ×20, first 2 shown]
	v_add_f64_e32 v[70:71], v[24:25], v[96:97]
	v_add_f64_e32 v[76:77], v[36:37], v[32:33]
	v_fma_f64 v[96:97], v[112:113], s[2:3], v[108:109]
	v_fma_f64 v[112:113], v[210:211], s[2:3], v[40:41]
	;; [unrolled: 1-line block ×19, first 2 shown]
	v_add_f64_e32 v[88:89], v[16:17], v[12:13]
	v_fma_f64 v[128:129], v[114:115], s[2:3], v[20:21]
	v_fma_f64 v[130:131], v[116:117], s[2:3], v[30:31]
	;; [unrolled: 1-line block ×4, first 2 shown]
	v_add_f64_e32 v[14:15], v[14:15], v[183:184]
	ds_store_2addr_b64 v248, v[68:69], v[66:67] offset1:11
	ds_store_2addr_b64 v248, v[84:85], v[44:45] offset0:22 offset1:33
	ds_store_b64 v248, v[78:79] offset:352
	ds_store_2addr_b64 v204, v[38:39], v[90:91] offset1:11
	ds_store_2addr_b64 v204, v[98:99], v[46:47] offset0:22 offset1:33
	ds_store_b64 v204, v[120:121] offset:352
	;; [unrolled: 3-line block ×5, first 2 shown]
	global_wb scope:SCOPE_SE
	s_wait_dscnt 0x0
	s_barrier_signal -1
	s_barrier_wait -1
	global_inv scope:SCOPE_SE
	ds_load_2addr_b64 v[8:11], v187 offset1:55
	ds_load_2addr_b64 v[0:3], v190 offset0:92 offset1:147
	ds_load_2addr_b64 v[20:23], v192 offset0:38 offset1:93
	;; [unrolled: 1-line block ×11, first 2 shown]
	ds_load_b64 v[156:157], v187 offset:10560
	global_wb scope:SCOPE_SE
	s_wait_dscnt 0x0
	s_barrier_signal -1
	s_barrier_wait -1
	global_inv scope:SCOPE_SE
	ds_store_2addr_b64 v248, v[72:73], v[92:93] offset1:11
	ds_store_2addr_b64 v248, v[104:105], v[110:111] offset0:22 offset1:33
	ds_store_b64 v248, v[100:101] offset:352
	ds_store_2addr_b64 v204, v[76:77], v[112:113] offset1:11
	ds_store_2addr_b64 v204, v[74:75], v[80:81] offset0:22 offset1:33
	ds_store_b64 v204, v[118:119] offset:352
	ds_store_2addr_b64 v249, v[70:71], v[54:55] offset1:11
	ds_store_2addr_b64 v249, v[82:83], v[102:103] offset0:22 offset1:33
	ds_store_b64 v249, v[56:57] offset:352
	ds_store_2addr_b64 v250, v[88:89], v[128:129] offset1:11
	ds_store_2addr_b64 v250, v[130:131], v[116:117] offset0:22 offset1:33
	ds_store_b64 v250, v[114:115] offset:352
	ds_store_2addr_b64 v247, v[62:63], v[94:95] offset1:11
	ds_store_2addr_b64 v247, v[106:107], v[108:109] offset0:22 offset1:33
	ds_store_b64 v247, v[96:97] offset:352
	v_lshrrev_b16 v52, 13, v179
	v_sub_nc_u16 v53, v188, v166
	v_add_nc_u16 v56, v246, v205
	global_wb scope:SCOPE_SE
	s_wait_dscnt 0x0
	s_barrier_signal -1
	s_barrier_wait -1
	global_inv scope:SCOPE_SE
	global_load_b128 v[48:51], v[181:182], off offset:720
	v_mul_lo_u16 v64, v52, 55
	v_and_b32_e32 v116, 0xff, v53
	global_load_b128 v[52:55], v[181:182], off offset:704
	v_lshrrev_b16 v65, 5, v56
	s_clause 0x1
	global_load_b128 v[56:59], v[181:182], off offset:736
	global_load_b128 v[60:63], v[181:182], off offset:752
	v_sub_nc_u16 v64, v197, v64
	v_lshlrev_b32_e32 v76, 6, v116
	v_lshl_add_u32 v179, v116, 3, 0
	v_mul_lo_u16 v65, v65, 55
	s_delay_alu instid0(VALU_DEP_4) | instskip(NEXT) | instid1(VALU_DEP_3)
	v_and_b32_e32 v120, 0xff, v64
	v_add_nc_u32_e32 v242, 0x1000, v179
	s_delay_alu instid0(VALU_DEP_3)
	v_sub_nc_u16 v77, v189, v65
	s_clause 0x1
	global_load_b128 v[64:67], v76, s[4:5] offset:704
	global_load_b128 v[68:71], v76, s[4:5] offset:720
	v_lshlrev_b32_e32 v92, 6, v120
	global_load_b128 v[72:75], v76, s[4:5] offset:736
	v_lshl_add_u32 v240, v120, 3, 0
	v_and_b32_e32 v124, 0xffff, v77
	s_clause 0x2
	global_load_b128 v[76:79], v76, s[4:5] offset:752
	global_load_b128 v[80:83], v92, s[4:5] offset:704
	;; [unrolled: 1-line block ×3, first 2 shown]
	v_add_nc_u32_e32 v243, 0x1800, v240
	v_lshlrev_b32_e32 v108, 6, v124
	s_clause 0x5
	global_load_b128 v[88:91], v92, s[4:5] offset:736
	global_load_b128 v[92:95], v92, s[4:5] offset:752
	;; [unrolled: 1-line block ×6, first 2 shown]
	ds_load_2addr_b64 v[112:115], v192 offset0:38 offset1:93
	ds_load_2addr_b64 v[116:119], v190 offset0:92 offset1:147
	;; [unrolled: 1-line block ×3, first 2 shown]
	v_lshl_add_u32 v241, v124, 3, 0
	ds_load_2addr_b64 v[124:127], v193 offset0:76 offset1:131
	ds_load_2addr_b64 v[128:131], v191 offset0:74 offset1:129
	;; [unrolled: 1-line block ×3, first 2 shown]
	ds_load_2addr_b64 v[136:139], v187 offset1:55
	ds_load_2addr_b64 v[140:143], v192 offset0:148 offset1:203
	ds_load_2addr_b64 v[144:147], v193 offset0:186 offset1:241
	;; [unrolled: 1-line block ×4, first 2 shown]
	ds_load_b64 v[164:165], v187 offset:10560
	v_add_nc_u32_e32 v244, 0x2000, v241
	s_wait_loadcnt_dscnt 0xf0b
	v_mul_f64_e32 v[158:159], v[112:113], v[50:51]
	v_mul_f64_e32 v[160:161], v[114:115], v[50:51]
	;; [unrolled: 1-line block ×4, first 2 shown]
	s_wait_loadcnt_dscnt 0xe0a
	v_mul_f64_e32 v[166:167], v[118:119], v[54:55]
	s_wait_loadcnt_dscnt 0xd09
	v_mul_f64_e32 v[170:171], v[122:123], v[58:59]
	s_wait_loadcnt_dscnt 0xc08
	v_mul_f64_e32 v[174:175], v[124:125], v[62:63]
	s_wait_dscnt 0x7
	v_mul_f64_e32 v[183:184], v[128:129], v[54:55]
	s_wait_dscnt 0x6
	v_mul_f64_e32 v[185:186], v[132:133], v[58:59]
	v_mul_f64_e32 v[198:199], v[126:127], v[62:63]
	v_mul_f64_e32 v[168:169], v[2:3], v[54:55]
	v_mul_f64_e32 v[172:173], v[14:15], v[58:59]
	v_mul_f64_e32 v[176:177], v[24:25], v[62:63]
	v_mul_f64_e32 v[54:55], v[28:29], v[54:55]
	s_wait_loadcnt 0xb
	v_mul_f64_e32 v[200:201], v[130:131], v[66:67]
	s_wait_loadcnt_dscnt 0xa04
	v_mul_f64_e32 v[202:203], v[140:141], v[70:71]
	v_mul_f64_e32 v[58:59], v[32:33], v[58:59]
	s_wait_loadcnt 0x9
	v_mul_f64_e32 v[204:205], v[134:135], v[74:75]
	v_mul_f64_e32 v[62:63], v[26:27], v[62:63]
	s_wait_loadcnt_dscnt 0x803
	v_mul_f64_e32 v[206:207], v[144:145], v[78:79]
	v_mul_f64_e32 v[66:67], v[30:31], v[66:67]
	s_wait_loadcnt_dscnt 0x702
	v_mul_f64_e32 v[208:209], v[148:149], v[82:83]
	s_wait_loadcnt 0x6
	v_mul_f64_e32 v[210:211], v[142:143], v[86:87]
	s_wait_loadcnt_dscnt 0x501
	v_mul_f64_e32 v[212:213], v[152:153], v[90:91]
	s_wait_loadcnt 0x4
	v_mul_f64_e32 v[214:215], v[146:147], v[94:95]
	v_mul_f64_e32 v[70:71], v[36:37], v[70:71]
	;; [unrolled: 1-line block ×5, first 2 shown]
	s_wait_loadcnt 0x3
	v_mul_f64_e32 v[216:217], v[150:151], v[98:99]
	s_wait_loadcnt 0x2
	v_mul_f64_e32 v[218:219], v[120:121], v[102:103]
	v_mul_f64_e32 v[78:79], v[40:41], v[78:79]
	;; [unrolled: 1-line block ×6, first 2 shown]
	v_fma_f64 v[158:159], v[20:21], v[48:49], v[158:159]
	v_fma_f64 v[160:161], v[22:23], v[48:49], v[160:161]
	v_fma_f64 v[112:113], v[112:113], v[48:49], -v[162:163]
	v_fma_f64 v[48:49], v[114:115], v[48:49], -v[50:51]
	s_wait_loadcnt 0x1
	v_mul_f64_e32 v[50:51], v[154:155], v[106:107]
	v_fma_f64 v[2:3], v[2:3], v[52:53], v[166:167]
	v_fma_f64 v[14:15], v[14:15], v[56:57], v[170:171]
	;; [unrolled: 1-line block ×6, first 2 shown]
	s_wait_loadcnt_dscnt 0x0
	v_mul_f64_e32 v[114:115], v[164:165], v[110:111]
	v_mul_f64_e32 v[106:107], v[18:19], v[106:107]
	;; [unrolled: 1-line block ×3, first 2 shown]
	v_fma_f64 v[118:119], v[118:119], v[52:53], -v[168:169]
	v_fma_f64 v[122:123], v[122:123], v[56:57], -v[172:173]
	;; [unrolled: 1-line block ×4, first 2 shown]
	v_fma_f64 v[30:31], v[30:31], v[64:65], v[200:201]
	v_fma_f64 v[36:37], v[36:37], v[68:69], v[202:203]
	;; [unrolled: 1-line block ×3, first 2 shown]
	v_fma_f64 v[54:55], v[132:133], v[56:57], -v[58:59]
	v_fma_f64 v[56:57], v[126:127], v[60:61], -v[62:63]
	v_fma_f64 v[40:41], v[40:41], v[76:77], v[206:207]
	v_fma_f64 v[58:59], v[130:131], v[64:65], -v[66:67]
	v_fma_f64 v[44:45], v[44:45], v[80:81], v[208:209]
	v_fma_f64 v[38:39], v[38:39], v[84:85], v[210:211]
	;; [unrolled: 1-line block ×4, first 2 shown]
	v_fma_f64 v[60:61], v[140:141], v[68:69], -v[70:71]
	v_fma_f64 v[62:63], v[134:135], v[72:73], -v[74:75]
	;; [unrolled: 1-line block ×4, first 2 shown]
	v_fma_f64 v[46:47], v[46:47], v[96:97], v[216:217]
	v_fma_f64 v[12:13], v[12:13], v[100:101], v[218:219]
	v_fma_f64 v[64:65], v[144:145], v[76:77], -v[78:79]
	v_fma_f64 v[66:67], v[148:149], v[80:81], -v[82:83]
	ds_load_2addr_b64 v[20:23], v187 offset0:110 offset1:165
	v_fma_f64 v[70:71], v[152:153], v[88:89], -v[90:91]
	v_fma_f64 v[74:75], v[150:151], v[96:97], -v[98:99]
	;; [unrolled: 1-line block ×3, first 2 shown]
	global_wb scope:SCOPE_SE
	s_wait_dscnt 0x0
	v_fma_f64 v[18:19], v[18:19], v[104:105], v[50:51]
	v_add_f64_e32 v[82:83], v[8:9], v[2:3]
	v_add_f64_e32 v[84:85], v[158:159], v[14:15]
	v_add_f64_e64 v[90:91], v[2:3], -v[158:159]
	v_add_f64_e32 v[94:95], v[2:3], v[24:25]
	v_add_f64_e32 v[126:127], v[160:161], v[32:33]
	;; [unrolled: 1-line block ×3, first 2 shown]
	v_fma_f64 v[78:79], v[156:157], v[108:109], v[114:115]
	v_fma_f64 v[50:51], v[154:155], v[104:105], -v[106:107]
	v_fma_f64 v[80:81], v[164:165], v[108:109], -v[110:111]
	v_add_f64_e64 v[92:93], v[24:25], -v[14:15]
	v_add_f64_e64 v[96:97], v[158:159], -v[2:3]
	;; [unrolled: 1-line block ×3, first 2 shown]
	v_add_f64_e32 v[100:101], v[136:137], v[118:119]
	v_add_f64_e64 v[106:107], v[118:119], -v[112:113]
	v_add_f64_e64 v[108:109], v[124:125], -v[122:123]
	;; [unrolled: 1-line block ×5, first 2 shown]
	v_add_f64_e32 v[110:111], v[118:119], v[124:125]
	v_add_f64_e64 v[114:115], v[112:113], -v[118:119]
	v_add_f64_e64 v[118:119], v[122:123], -v[124:125]
	v_add_f64_e32 v[120:121], v[10:11], v[28:29]
	v_add_f64_e32 v[102:103], v[112:113], v[122:123]
	v_add_f64_e64 v[142:143], v[160:161], -v[28:29]
	v_add_f64_e64 v[144:145], v[32:33], -v[26:27]
	v_add_f64_e32 v[146:147], v[138:139], v[52:53]
	v_add_f64_e32 v[164:165], v[4:5], v[30:31]
	;; [unrolled: 1-line block ×6, first 2 shown]
	v_add_f64_e64 v[128:129], v[52:53], -v[56:57]
	v_add_f64_e64 v[152:153], v[52:53], -v[48:49]
	;; [unrolled: 1-line block ×4, first 2 shown]
	v_add_f64_e32 v[198:199], v[20:21], v[58:59]
	v_add_f64_e32 v[212:213], v[6:7], v[44:45]
	;; [unrolled: 1-line block ×3, first 2 shown]
	v_add_f64_e64 v[154:155], v[56:57], -v[54:55]
	v_add_f64_e32 v[222:223], v[44:45], v[42:43]
	v_add_f64_e64 v[172:173], v[30:31], -v[36:37]
	v_add_f64_e64 v[174:175], v[40:41], -v[34:35]
	;; [unrolled: 1-line block ×4, first 2 shown]
	v_add_f64_e32 v[200:201], v[60:61], v[62:63]
	v_fma_f64 v[84:85], v[84:85], -0.5, v[8:9]
	v_fma_f64 v[8:9], v[94:95], -0.5, v[8:9]
	;; [unrolled: 1-line block ×4, first 2 shown]
	v_add_f64_e32 v[126:127], v[0:1], v[46:47]
	v_add_f64_e32 v[140:141], v[12:13], v[18:19]
	v_add_f64_e64 v[104:105], v[158:159], -v[14:15]
	v_add_f64_e32 v[82:83], v[82:83], v[158:159]
	v_add_f64_e32 v[158:159], v[46:47], v[78:79]
	;; [unrolled: 1-line block ×4, first 2 shown]
	v_add_f64_e64 v[88:89], v[112:113], -v[122:123]
	v_add_f64_e64 v[204:205], v[58:59], -v[60:61]
	;; [unrolled: 1-line block ×3, first 2 shown]
	v_add_f64_e32 v[230:231], v[68:69], v[70:71]
	v_add_f64_e32 v[236:237], v[66:67], v[72:73]
	;; [unrolled: 1-line block ×3, first 2 shown]
	v_add_f64_e64 v[92:93], v[12:13], -v[46:47]
	v_add_f64_e32 v[96:97], v[96:97], v[98:99]
	v_add_f64_e64 v[98:99], v[18:19], -v[78:79]
	v_add_f64_e32 v[100:101], v[100:101], v[112:113]
	v_add_f64_e32 v[112:113], v[116:117], v[74:75]
	v_add_f64_e32 v[106:107], v[106:107], v[108:109]
	v_add_f64_e32 v[108:109], v[76:77], v[50:51]
	v_add_f64_e32 v[132:133], v[132:133], v[134:135]
	v_add_f64_e32 v[134:135], v[74:75], v[80:81]
	v_add_f64_e64 v[150:151], v[160:161], -v[32:33]
	v_add_f64_e32 v[114:115], v[114:115], v[118:119]
	v_add_f64_e64 v[118:119], v[74:75], -v[76:77]
	v_add_f64_e32 v[120:121], v[120:121], v[160:161]
	v_add_f64_e64 v[160:161], v[80:81], -v[50:51]
	v_add_f64_e64 v[2:3], v[2:3], -v[24:25]
	;; [unrolled: 1-line block ×3, first 2 shown]
	v_fma_f64 v[102:103], v[102:103], -0.5, v[136:137]
	v_add_f64_e32 v[142:143], v[142:143], v[144:145]
	v_add_f64_e64 v[144:145], v[76:77], -v[74:75]
	v_add_f64_e32 v[48:49], v[146:147], v[48:49]
	v_add_f64_e64 v[146:147], v[50:51], -v[80:81]
	v_add_f64_e64 v[168:169], v[58:59], -v[64:65]
	;; [unrolled: 1-line block ×3, first 2 shown]
	v_add_f64_e32 v[36:37], v[164:165], v[36:37]
	v_fma_f64 v[166:167], v[166:167], -0.5, v[4:5]
	v_add_f64_e64 v[170:171], v[60:61], -v[62:63]
	v_fma_f64 v[110:111], v[110:111], -0.5, v[136:137]
	v_fma_f64 v[136:137], v[148:149], -0.5, v[138:139]
	;; [unrolled: 1-line block ×3, first 2 shown]
	v_add_f64_e64 v[148:149], v[46:47], -v[12:13]
	v_add_f64_e64 v[156:157], v[78:79], -v[18:19]
	v_fma_f64 v[4:5], v[176:177], -0.5, v[4:5]
	v_add_f64_e64 v[58:59], v[60:61], -v[58:59]
	v_add_f64_e64 v[216:217], v[66:67], -v[72:73]
	;; [unrolled: 1-line block ×4, first 2 shown]
	v_add_f64_e32 v[52:53], v[52:53], v[162:163]
	v_add_f64_e64 v[162:163], v[38:39], -v[16:17]
	v_add_f64_e32 v[60:61], v[198:199], v[60:61]
	v_add_f64_e32 v[38:39], v[212:213], v[38:39]
	v_fma_f64 v[198:199], v[214:215], -0.5, v[6:7]
	v_add_f64_e32 v[152:153], v[152:153], v[154:155]
	v_add_f64_e64 v[154:155], v[68:69], -v[70:71]
	v_fma_f64 v[6:7], v[222:223], -0.5, v[6:7]
	v_add_f64_e64 v[30:31], v[30:31], -v[40:41]
	v_add_f64_e64 v[74:75], v[74:75], -v[80:81]
	v_add_f64_e32 v[172:173], v[172:173], v[174:175]
	v_add_f64_e64 v[174:175], v[12:13], -v[18:19]
	v_add_f64_e32 v[176:177], v[183:184], v[185:186]
	v_fma_f64 v[183:184], v[200:201], -0.5, v[20:21]
	v_add_f64_e32 v[12:13], v[126:127], v[12:13]
	v_fma_f64 v[126:127], v[140:141], -0.5, v[0:1]
	v_add_f64_e64 v[210:211], v[62:63], -v[64:65]
	v_add_f64_e64 v[164:165], v[76:77], -v[50:51]
	v_fma_f64 v[0:1], v[158:159], -0.5, v[0:1]
	v_add_f64_e64 v[232:233], v[66:67], -v[68:69]
	v_add_f64_e64 v[66:67], v[68:69], -v[66:67]
	v_add_f64_e32 v[68:69], v[228:229], v[68:69]
	v_add_f64_e64 v[28:29], v[28:29], -v[26:27]
	v_fma_f64 v[20:21], v[208:209], -0.5, v[20:21]
	v_add_f64_e64 v[44:45], v[44:45], -v[42:43]
	v_add_f64_e64 v[46:47], v[46:47], -v[78:79]
	v_add_f64_e32 v[185:186], v[204:205], v[206:207]
	v_fma_f64 v[206:207], v[230:231], -0.5, v[22:23]
	v_fma_f64 v[22:23], v[236:237], -0.5, v[22:23]
	v_add_f64_e32 v[92:93], v[92:93], v[98:99]
	v_add_f64_e32 v[76:77], v[112:113], v[76:77]
	v_fma_f64 v[98:99], v[108:109], -0.5, v[116:117]
	v_fma_f64 v[112:113], v[134:135], -0.5, v[116:117]
	v_add_f64_e32 v[14:15], v[82:83], v[14:15]
	v_fma_f64 v[82:83], v[86:87], s[10:11], v[84:85]
	v_add_f64_e32 v[108:109], v[118:119], v[160:161]
	v_fma_f64 v[84:85], v[86:87], s[12:13], v[84:85]
	v_fma_f64 v[118:119], v[88:89], s[12:13], v[8:9]
	;; [unrolled: 1-line block ×3, first 2 shown]
	v_add_f64_e32 v[116:117], v[144:145], v[146:147]
	v_add_f64_e32 v[100:101], v[100:101], v[122:123]
	v_fma_f64 v[122:123], v[2:3], s[12:13], v[102:103]
	v_fma_f64 v[102:103], v[2:3], s[10:11], v[102:103]
	v_add_f64_e32 v[32:33], v[120:121], v[32:33]
	v_fma_f64 v[120:121], v[128:129], s[10:11], v[94:95]
	v_fma_f64 v[144:145], v[130:131], s[12:13], v[10:11]
	;; [unrolled: 1-line block ×4, first 2 shown]
	v_add_f64_e32 v[34:35], v[36:37], v[34:35]
	v_fma_f64 v[36:37], v[168:169], s[10:11], v[166:167]
	v_add_f64_e32 v[140:141], v[148:149], v[156:157]
	v_fma_f64 v[134:135], v[104:105], s[10:11], v[110:111]
	v_fma_f64 v[110:111], v[104:105], s[12:13], v[110:111]
	;; [unrolled: 1-line block ×4, first 2 shown]
	v_add_f64_e64 v[220:221], v[42:43], -v[16:17]
	v_add_f64_e64 v[226:227], v[16:17], -v[42:43]
	v_add_f64_e32 v[16:17], v[38:39], v[16:17]
	v_fma_f64 v[38:39], v[216:217], s[10:11], v[198:199]
	v_fma_f64 v[148:149], v[168:169], s[12:13], v[166:167]
	;; [unrolled: 1-line block ×4, first 2 shown]
	v_add_f64_e32 v[60:61], v[60:61], v[62:63]
	v_fma_f64 v[62:63], v[30:31], s[12:13], v[183:184]
	v_fma_f64 v[158:159], v[30:31], s[10:11], v[183:184]
	;; [unrolled: 1-line block ×3, first 2 shown]
	v_add_f64_e32 v[58:59], v[58:59], v[210:211]
	v_fma_f64 v[210:211], v[164:165], s[12:13], v[0:1]
	v_fma_f64 v[0:1], v[164:165], s[10:11], v[0:1]
	;; [unrolled: 1-line block ×3, first 2 shown]
	v_add_f64_e64 v[234:235], v[72:73], -v[70:71]
	v_add_f64_e64 v[238:239], v[70:71], -v[72:73]
	v_add_f64_e32 v[68:69], v[68:69], v[70:71]
	v_fma_f64 v[70:71], v[74:75], s[12:13], v[126:127]
	v_add_f64_e32 v[48:49], v[48:49], v[54:55]
	v_fma_f64 v[54:55], v[28:29], s[12:13], v[136:137]
	v_fma_f64 v[146:147], v[150:151], s[10:11], v[138:139]
	;; [unrolled: 1-line block ×10, first 2 shown]
	v_add_f64_e32 v[12:13], v[12:13], v[18:19]
	v_add_f64_e32 v[18:19], v[76:77], v[50:51]
	v_fma_f64 v[50:51], v[46:47], s[12:13], v[98:99]
	v_fma_f64 v[76:77], v[46:47], s[10:11], v[98:99]
	v_fma_f64 v[98:99], v[174:175], s[10:11], v[112:113]
	v_fma_f64 v[112:113], v[174:175], s[12:13], v[112:113]
	v_add_f64_e32 v[14:15], v[14:15], v[24:25]
	v_fma_f64 v[24:25], v[88:89], s[6:7], v[82:83]
	v_fma_f64 v[82:83], v[88:89], s[14:15], v[84:85]
	;; [unrolled: 1-line block ×4, first 2 shown]
	v_add_f64_e32 v[86:87], v[100:101], v[124:125]
	v_fma_f64 v[88:89], v[104:105], s[14:15], v[122:123]
	v_fma_f64 v[100:101], v[104:105], s[6:7], v[102:103]
	v_add_f64_e32 v[26:27], v[32:33], v[26:27]
	v_fma_f64 v[32:33], v[130:131], s[6:7], v[120:121]
	v_fma_f64 v[104:105], v[128:129], s[6:7], v[144:145]
	;; [unrolled: 1-line block ×9, first 2 shown]
	v_add_f64_e32 v[200:201], v[218:219], v[220:221]
	v_fma_f64 v[38:39], v[154:155], s[6:7], v[38:39]
	v_add_f64_e32 v[204:205], v[224:225], v[226:227]
	v_fma_f64 v[118:119], v[216:217], s[6:7], v[166:167]
	v_fma_f64 v[6:7], v[216:217], s[14:15], v[6:7]
	;; [unrolled: 1-line block ×12, first 2 shown]
	v_add_f64_e32 v[34:35], v[34:35], v[40:41]
	v_fma_f64 v[40:41], v[202:203], s[14:15], v[62:63]
	v_fma_f64 v[134:135], v[30:31], s[14:15], v[160:161]
	;; [unrolled: 1-line block ×3, first 2 shown]
	v_add_f64_e32 v[208:209], v[232:233], v[234:235]
	v_add_f64_e32 v[66:67], v[66:67], v[238:239]
	;; [unrolled: 1-line block ×3, first 2 shown]
	v_fma_f64 v[30:31], v[162:163], s[14:15], v[126:127]
	v_fma_f64 v[42:43], v[162:163], s[6:7], v[206:207]
	;; [unrolled: 1-line block ×9, first 2 shown]
	v_add_f64_e32 v[12:13], v[12:13], v[78:79]
	v_fma_f64 v[78:79], v[90:91], s[2:3], v[82:83]
	v_fma_f64 v[82:83], v[96:97], s[2:3], v[84:85]
	;; [unrolled: 1-line block ×20, first 2 shown]
	v_add_f64_e32 v[60:61], v[60:61], v[64:65]
	v_add_f64_e32 v[64:65], v[68:69], v[72:73]
	v_fma_f64 v[72:73], v[106:107], s[2:3], v[88:89]
	v_add_f64_e32 v[68:69], v[18:19], v[80:81]
	v_fma_f64 v[80:81], v[106:107], s[2:3], v[100:101]
	v_fma_f64 v[88:89], v[114:115], s[2:3], v[102:103]
	v_fma_f64 v[100:101], v[114:115], s[2:3], v[2:3]
	v_add_f64_e32 v[56:57], v[48:49], v[56:57]
	v_fma_f64 v[54:55], v[152:153], s[2:3], v[54:55]
	v_fma_f64 v[106:107], v[52:53], s[2:3], v[130:131]
	;; [unrolled: 1-line block ×7, first 2 shown]
	s_barrier_signal -1
	s_barrier_wait -1
	global_inv scope:SCOPE_SE
	v_fma_f64 v[114:115], v[208:209], s[2:3], v[30:31]
	v_fma_f64 v[118:119], v[208:209], s[2:3], v[42:43]
	;; [unrolled: 1-line block ×7, first 2 shown]
	ds_store_2addr_b64 v187, v[14:15], v[24:25] offset1:55
	ds_store_2addr_b64 v187, v[82:83], v[8:9] offset0:110 offset1:165
	ds_store_2addr_b64 v190, v[78:79], v[26:27] offset0:92 offset1:147
	;; [unrolled: 1-line block ×10, first 2 shown]
	ds_store_b64 v179, v[74:75] offset:6160
	ds_store_b64 v240, v[92:93] offset:8360
	;; [unrolled: 1-line block ×3, first 2 shown]
	global_wb scope:SCOPE_SE
	s_wait_dscnt 0x0
	s_barrier_signal -1
	s_barrier_wait -1
	global_inv scope:SCOPE_SE
	ds_load_2addr_b64 v[0:3], v187 offset1:55
	ds_load_2addr_b64 v[8:11], v190 offset0:92 offset1:147
	ds_load_2addr_b64 v[16:19], v192 offset0:38 offset1:93
	;; [unrolled: 1-line block ×11, first 2 shown]
	ds_load_b64 v[48:49], v187 offset:10560
	v_fma_f64 v[76:77], v[116:117], s[2:3], v[76:77]
	v_fma_f64 v[62:63], v[185:186], s[2:3], v[62:63]
	global_wb scope:SCOPE_SE
	s_wait_dscnt 0x0
	s_barrier_signal -1
	s_barrier_wait -1
	global_inv scope:SCOPE_SE
	ds_store_2addr_b64 v187, v[86:87], v[72:73] offset1:55
	ds_store_2addr_b64 v187, v[88:89], v[100:101] offset0:110 offset1:165
	ds_store_2addr_b64 v190, v[80:81], v[56:57] offset0:92 offset1:147
	;; [unrolled: 1-line block ×10, first 2 shown]
	ds_store_b64 v179, v[62:63] offset:6160
	ds_store_b64 v240, v[118:119] offset:8360
	;; [unrolled: 1-line block ×3, first 2 shown]
	global_wb scope:SCOPE_SE
	s_wait_dscnt 0x0
	s_barrier_signal -1
	s_barrier_wait -1
	global_inv scope:SCOPE_SE
	s_and_saveexec_b32 s0, vcc_lo
	s_cbranch_execz .LBB0_19
; %bb.18:
	v_lshlrev_b32_e32 v179, 2, v189
	s_clause 0x3
	global_load_b128 v[52:55], v[181:182], off offset:4240
	global_load_b128 v[56:59], v[181:182], off offset:4272
	global_load_b128 v[60:63], v[181:182], off offset:4256
	global_load_b128 v[64:67], v[181:182], off offset:4224
	v_add_nc_u32_e32 v172, 0x1800, v187
	v_add_nc_u32_e32 v160, 0x1000, v187
	v_lshlrev_b64_e32 v[50:51], 4, v[179:180]
	v_lshlrev_b32_e32 v179, 2, v197
	v_add_nc_u32_e32 v164, 0x2000, v187
	v_mul_hi_u32 v183, 0xdca01dcb, v189
	v_add_nc_u32_e32 v168, 0x800, v187
	v_add_nc_u32_e32 v156, 0x1c00, v187
	v_add_co_u32 v50, vcc_lo, s4, v50
	s_wait_alu 0xfffd
	v_add_co_ci_u32_e32 v51, vcc_lo, s5, v51, vcc_lo
	v_lshlrev_b64_e32 v[84:85], 4, v[179:180]
	v_lshlrev_b32_e32 v179, 2, v188
	v_sub_nc_u32_e32 v169, v189, v183
	s_clause 0x3
	global_load_b128 v[68:71], v[50:51], off offset:4272
	global_load_b128 v[72:75], v[50:51], off offset:4256
	;; [unrolled: 1-line block ×4, first 2 shown]
	v_lshlrev_b64_e32 v[50:51], 4, v[179:180]
	v_lshlrev_b32_e32 v179, 2, v196
	v_add_co_u32 v96, vcc_lo, s4, v84
	s_wait_alu 0xfffd
	v_add_co_ci_u32_e32 v97, vcc_lo, s5, v85, vcc_lo
	s_delay_alu instid0(VALU_DEP_4)
	v_add_co_u32 v50, vcc_lo, s4, v50
	v_lshlrev_b64_e32 v[116:117], 4, v[179:180]
	v_mov_b32_e32 v179, v180
	s_wait_alu 0xfffd
	v_add_co_ci_u32_e32 v51, vcc_lo, s5, v51, vcc_lo
	s_clause 0x7
	global_load_b128 v[84:87], v[96:97], off offset:4240
	global_load_b128 v[88:91], v[96:97], off offset:4224
	;; [unrolled: 1-line block ×8, first 2 shown]
	v_add_co_u32 v50, vcc_lo, s4, v116
	s_wait_alu 0xfffd
	v_add_co_ci_u32_e32 v51, vcc_lo, s5, v117, vcc_lo
	s_clause 0x3
	global_load_b128 v[116:119], v[50:51], off offset:4240
	global_load_b128 v[120:123], v[50:51], off offset:4224
	;; [unrolled: 1-line block ×4, first 2 shown]
	v_add_nc_u32_e32 v50, 0x400, v187
	ds_load_2addr_b64 v[136:139], v172 offset0:2 offset1:57
	ds_load_2addr_b64 v[132:135], v160 offset0:38 offset1:93
	v_lshrrev_b32_e32 v184, 1, v169
	ds_load_2addr_b64 v[140:143], v50 offset0:92 offset1:147
	ds_load_2addr_b64 v[144:147], v164 offset0:76 offset1:131
	ds_load_b64 v[50:51], v187 offset:10560
	ds_load_2addr_b64 v[148:151], v187 offset0:110 offset1:165
	ds_load_2addr_b64 v[152:155], v168 offset0:184 offset1:239
	ds_load_2addr_b64 v[156:159], v156 offset0:94 offset1:149
	v_add_nc_u32_e32 v216, v184, v183
	ds_load_2addr_b64 v[160:163], v160 offset0:148 offset1:203
	ds_load_2addr_b64 v[164:167], v164 offset0:186 offset1:241
	;; [unrolled: 1-line block ×4, first 2 shown]
	s_wait_loadcnt 0x12
	v_mul_f64_e32 v[185:186], v[12:13], v[58:59]
	s_wait_loadcnt 0x11
	v_mul_f64_e32 v[181:182], v[46:47], v[62:63]
	s_wait_dscnt 0xb
	v_mul_f64_e32 v[62:63], v[138:139], v[62:63]
	s_wait_loadcnt 0x10
	v_mul_f64_e32 v[183:184], v[10:11], v[66:67]
	v_mul_f64_e32 v[176:177], v[16:17], v[54:55]
	s_wait_dscnt 0xa
	v_mul_f64_e32 v[54:55], v[132:133], v[54:55]
	s_wait_dscnt 0x9
	;; [unrolled: 2-line block ×3, first 2 shown]
	v_mul_f64_e32 v[58:59], v[144:145], v[58:59]
	s_wait_loadcnt 0xf
	v_mul_f64_e32 v[194:195], v[48:49], v[70:71]
	s_wait_loadcnt 0xe
	;; [unrolled: 2-line block ×4, first 2 shown]
	v_mul_f64_e32 v[190:191], v[38:39], v[82:83]
	v_mul_f64_e32 v[78:79], v[136:137], v[78:79]
	s_wait_dscnt 0x4
	v_mul_f64_e32 v[74:75], v[158:159], v[74:75]
	v_mul_f64_e32 v[82:83], v[154:155], v[82:83]
	;; [unrolled: 1-line block ×3, first 2 shown]
	s_wait_loadcnt 0xb
	v_mul_f64_e32 v[196:197], v[34:35], v[86:87]
	s_wait_loadcnt 0xa
	v_mul_f64_e32 v[198:199], v[36:37], v[90:91]
	;; [unrolled: 2-line block ×4, first 2 shown]
	s_wait_dscnt 0x3
	v_mul_f64_e32 v[86:87], v[162:163], v[86:87]
	v_mul_f64_e32 v[98:99], v[156:157], v[98:99]
	;; [unrolled: 1-line block ×3, first 2 shown]
	s_wait_dscnt 0x2
	v_mul_f64_e32 v[94:95], v[166:167], v[94:95]
	s_wait_loadcnt 0x5
	v_mul_f64_e32 v[204:205], v[32:33], v[110:111]
	v_fma_f64 v[138:139], v[138:139], v[60:61], -v[181:182]
	v_fma_f64 v[46:47], v[46:47], v[60:61], v[62:63]
	s_wait_loadcnt 0x3
	v_mul_f64_e32 v[212:213], v[18:19], v[118:119]
	v_mul_f64_e32 v[60:61], v[134:135], v[118:119]
	v_fma_f64 v[118:119], v[142:143], v[64:65], -v[183:184]
	v_lshrrev_b32_e32 v142, 8, v216
	v_mul_f64_e32 v[206:207], v[22:23], v[114:115]
	v_mul_f64_e32 v[208:209], v[26:27], v[106:107]
	;; [unrolled: 1-line block ×4, first 2 shown]
	s_wait_dscnt 0x0
	v_mul_f64_e32 v[106:107], v[174:175], v[106:107]
	v_mul_f64_e32 v[114:115], v[170:171], v[114:115]
	;; [unrolled: 1-line block ×3, first 2 shown]
	s_wait_loadcnt 0x2
	v_mul_f64_e32 v[214:215], v[20:21], v[122:123]
	v_fma_f64 v[132:133], v[132:133], v[52:53], -v[176:177]
	v_fma_f64 v[16:17], v[16:17], v[52:53], v[54:55]
	s_wait_loadcnt 0x1
	v_mul_f64_e32 v[52:53], v[24:25], v[126:127]
	s_wait_loadcnt 0x0
	v_mul_f64_e32 v[54:55], v[14:15], v[130:131]
	v_mul_f64_e32 v[62:63], v[172:173], v[126:127]
	v_fma_f64 v[64:65], v[10:11], v[64:65], v[66:67]
	v_mul_f64_e32 v[66:67], v[168:169], v[122:123]
	v_mul_f64_e32 v[122:123], v[146:147], v[130:131]
	v_fma_f64 v[126:127], v[144:145], v[56:57], -v[185:186]
	v_fma_f64 v[56:57], v[12:13], v[56:57], v[58:59]
	v_lshlrev_b64_e32 v[130:131], 4, v[178:179]
	v_mul_u32_u24_e32 v179, 0x44c, v142
	v_fma_f64 v[58:59], v[136:137], v[76:77], -v[188:189]
	v_fma_f64 v[136:137], v[154:155], v[80:81], -v[190:191]
	;; [unrolled: 1-line block ×4, first 2 shown]
	ds_load_2addr_b64 v[10:13], v187 offset1:55
	v_fma_f64 v[44:45], v[44:45], v[76:77], v[78:79]
	v_fma_f64 v[42:43], v[42:43], v[72:73], v[74:75]
	;; [unrolled: 1-line block ×4, first 2 shown]
	v_fma_f64 v[68:69], v[162:163], v[84:85], -v[196:197]
	v_fma_f64 v[70:71], v[152:153], v[88:89], -v[198:199]
	;; [unrolled: 1-line block ×4, first 2 shown]
	v_fma_f64 v[34:35], v[34:35], v[84:85], v[86:87]
	v_fma_f64 v[40:41], v[40:41], v[96:97], v[98:99]
	;; [unrolled: 1-line block ×4, first 2 shown]
	v_fma_f64 v[84:85], v[134:135], v[116:117], -v[212:213]
	v_fma_f64 v[78:79], v[170:171], v[112:113], -v[206:207]
	;; [unrolled: 1-line block ×4, first 2 shown]
	v_fma_f64 v[32:33], v[32:33], v[108:109], v[110:111]
	v_fma_f64 v[26:27], v[26:27], v[104:105], v[106:107]
	;; [unrolled: 1-line block ×4, first 2 shown]
	v_fma_f64 v[86:87], v[168:169], v[120:121], -v[214:215]
	v_fma_f64 v[18:19], v[18:19], v[116:117], v[60:61]
	v_add_f64_e64 v[92:93], v[118:119], -v[132:133]
	v_fma_f64 v[52:53], v[172:173], v[124:125], -v[52:53]
	v_fma_f64 v[54:55], v[146:147], v[128:129], -v[54:55]
	v_fma_f64 v[24:25], v[24:25], v[124:125], v[62:63]
	v_add_f64_e32 v[96:97], v[132:133], v[138:139]
	v_fma_f64 v[20:21], v[20:21], v[120:121], v[66:67]
	v_fma_f64 v[60:61], v[14:15], v[128:129], v[122:123]
	v_add_f64_e64 v[14:15], v[132:133], -v[118:119]
	v_add_f64_e64 v[62:63], v[138:139], -v[126:127]
	v_add_f64_e32 v[88:89], v[118:119], v[126:127]
	v_add_f64_e64 v[90:91], v[64:65], -v[56:57]
	v_add_f64_e64 v[94:95], v[126:127], -v[138:139]
	s_wait_dscnt 0x0
	v_add_f64_e32 v[98:99], v[118:119], v[10:11]
	v_add_f64_e64 v[100:101], v[16:17], -v[64:65]
	v_add_f64_e64 v[104:105], v[118:119], -v[126:127]
	v_add_f64_e32 v[106:107], v[64:65], v[56:57]
	v_add_f64_e64 v[110:111], v[64:65], -v[16:17]
	v_add_f64_e64 v[112:113], v[56:57], -v[46:47]
	;; [unrolled: 3-line block ×3, first 2 shown]
	v_add_f64_e32 v[122:123], v[136:137], v[50:51]
	v_add_f64_e32 v[144:145], v[58:59], v[142:143]
	v_fma_f64 v[76:77], v[160:161], v[108:109], -v[204:205]
	v_add_f64_e64 v[66:67], v[16:17], -v[46:47]
	v_add_f64_e64 v[108:109], v[132:133], -v[138:139]
	v_add_f64_e32 v[114:115], v[16:17], v[46:47]
	v_add_f64_e32 v[146:147], v[136:137], v[140:141]
	v_add_f64_e64 v[102:103], v[46:47], -v[56:57]
	v_add_f64_e64 v[128:129], v[136:137], -v[58:59]
	;; [unrolled: 1-line block ×8, first 2 shown]
	v_add_f64_e32 v[223:224], v[22:23], v[28:29]
	v_add_f64_e64 v[227:228], v[22:23], -v[32:33]
	v_add_f64_e32 v[22:23], v[4:5], v[22:23]
	v_add_f64_e64 v[187:188], v[34:35], -v[36:37]
	v_add_f64_e32 v[239:240], v[86:87], v[54:55]
	v_add_f64_e32 v[191:192], v[36:37], v[30:31]
	v_add_f64_e64 v[195:196], v[36:37], -v[34:35]
	v_add_f64_e32 v[36:37], v[6:7], v[36:37]
	v_add_f64_e64 v[241:242], v[20:21], -v[60:61]
	v_add_f64_e64 v[203:204], v[80:81], -v[82:83]
	v_add_f64_e32 v[62:63], v[14:15], v[62:63]
	v_add_f64_e64 v[14:15], v[18:19], -v[20:21]
	v_fma_f64 v[88:89], v[88:89], -0.5, v[10:11]
	v_add_f64_e32 v[92:93], v[92:93], v[94:95]
	v_add_f64_e64 v[94:95], v[24:25], -v[60:61]
	v_add_f64_e32 v[98:99], v[132:133], v[98:99]
	v_add_f64_e32 v[132:133], v[20:21], v[60:61]
	v_fma_f64 v[10:11], v[96:97], -0.5, v[10:11]
	v_fma_f64 v[96:97], v[106:107], -0.5, v[0:1]
	v_add_f64_e32 v[110:111], v[110:111], v[112:113]
	v_add_f64_e64 v[112:113], v[20:21], -v[18:19]
	v_add_f64_e32 v[16:17], v[16:17], v[64:65]
	v_add_f64_e64 v[64:65], v[60:61], -v[24:25]
	v_fma_f64 v[122:123], v[122:123], -0.5, v[140:141]
	v_fma_f64 v[140:141], v[144:145], -0.5, v[140:141]
	v_add_f64_e32 v[144:145], v[84:85], v[52:53]
	v_add_f64_e32 v[116:117], v[116:117], v[118:119]
	;; [unrolled: 1-line block ×4, first 2 shown]
	v_add_f64_e64 v[201:202], v[76:77], -v[78:79]
	v_add_f64_e64 v[205:206], v[32:33], -v[26:27]
	v_add_f64_e32 v[207:208], v[78:79], v[82:83]
	v_add_f64_e32 v[231:232], v[32:33], v[26:27]
	v_add_f64_e64 v[233:234], v[84:85], -v[86:87]
	v_add_f64_e64 v[237:238], v[18:19], -v[24:25]
	v_add_f64_e64 v[243:244], v[86:87], -v[84:85]
	v_add_f64_e32 v[247:248], v[86:87], v[12:13]
	v_add_f64_e64 v[86:87], v[86:87], -v[54:55]
	v_fma_f64 v[0:1], v[114:115], -0.5, v[0:1]
	v_add_f64_e32 v[156:157], v[38:39], v[48:49]
	v_add_f64_e32 v[22:23], v[32:33], v[22:23]
	v_add_f64_e64 v[170:171], v[34:35], -v[40:41]
	v_fma_f64 v[32:33], v[239:240], -0.5, v[12:13]
	v_add_f64_e64 v[197:198], v[30:31], -v[40:41]
	v_add_f64_e32 v[199:200], v[34:35], v[40:41]
	v_add_f64_e32 v[100:101], v[100:101], v[102:103]
	;; [unrolled: 1-line block ×5, first 2 shown]
	v_add_f64_e64 v[124:125], v[38:39], -v[48:49]
	v_add_f64_e64 v[152:153], v[44:45], -v[38:39]
	v_add_f64_e32 v[38:39], v[8:9], v[38:39]
	v_add_f64_e64 v[166:167], v[68:69], -v[70:71]
	v_add_f64_e64 v[168:169], v[72:73], -v[74:75]
	v_add_f64_e32 v[185:186], v[70:71], v[150:151]
	v_add_f64_e32 v[215:216], v[76:77], v[80:81]
	;; [unrolled: 1-line block ×7, first 2 shown]
	v_fma_f64 v[64:65], v[66:67], s[10:11], v[88:89]
	v_add_f64_e32 v[164:165], v[44:45], v[42:43]
	v_fma_f64 v[12:13], v[144:145], -0.5, v[12:13]
	v_add_f64_e32 v[144:145], v[14:15], v[94:95]
	v_fma_f64 v[14:15], v[132:133], -0.5, v[2:3]
	v_fma_f64 v[2:3], v[118:119], -0.5, v[2:3]
	v_add_f64_e32 v[18:19], v[18:19], v[20:21]
	v_fma_f64 v[20:21], v[66:67], s[12:13], v[88:89]
	v_add_f64_e32 v[94:95], v[138:139], v[98:99]
	v_fma_f64 v[98:99], v[108:109], s[10:11], v[96:97]
	v_fma_f64 v[96:97], v[108:109], s[12:13], v[96:97]
	v_add_f64_e32 v[36:37], v[201:202], v[203:204]
	v_fma_f64 v[162:163], v[207:208], -0.5, v[148:149]
	v_fma_f64 v[88:89], v[90:91], s[10:11], v[10:11]
	v_fma_f64 v[10:11], v[90:91], s[12:13], v[10:11]
	;; [unrolled: 1-line block ×4, first 2 shown]
	v_add_f64_e32 v[22:23], v[22:23], v[26:27]
	v_fma_f64 v[128:129], v[156:157], -0.5, v[8:9]
	v_fma_f64 v[156:157], v[191:192], -0.5, v[6:7]
	v_add_f64_e32 v[160:161], v[195:196], v[197:198]
	v_fma_f64 v[6:7], v[199:200], -0.5, v[6:7]
	v_add_f64_e64 v[120:121], v[44:45], -v[42:43]
	v_add_f64_e64 v[154:155], v[42:43], -v[48:49]
	v_add_f64_e64 v[158:159], v[58:59], -v[142:143]
	v_add_f64_e64 v[176:177], v[70:71], -v[68:69]
	v_add_f64_e64 v[189:190], v[40:41], -v[30:31]
	v_add_f64_e64 v[193:194], v[68:69], -v[72:73]
	v_add_f64_e64 v[211:212], v[78:79], -v[76:77]
	v_add_f64_e64 v[78:79], v[78:79], -v[82:83]
	v_add_f64_e32 v[38:39], v[44:45], v[38:39]
	v_add_f64_e32 v[44:45], v[166:167], v[168:169]
	;; [unrolled: 1-line block ×3, first 2 shown]
	v_fma_f64 v[148:149], v[215:216], -0.5, v[148:149]
	v_fma_f64 v[168:169], v[223:224], -0.5, v[4:5]
	;; [unrolled: 1-line block ×3, first 2 shown]
	v_add_f64_e64 v[70:71], v[70:71], -v[74:75]
	v_add_f64_e32 v[58:59], v[58:59], v[146:147]
	v_fma_f64 v[64:65], v[90:91], s[14:15], v[64:65]
	v_fma_f64 v[146:147], v[172:173], -0.5, v[150:151]
	v_fma_f64 v[197:198], v[241:242], s[10:11], v[12:13]
	v_fma_f64 v[199:200], v[241:242], s[12:13], v[12:13]
	v_fma_f64 v[150:151], v[183:184], -0.5, v[150:151]
	v_fma_f64 v[203:204], v[86:87], s[12:13], v[2:3]
	v_fma_f64 v[207:208], v[86:87], s[10:11], v[2:3]
	v_add_f64_e32 v[24:25], v[18:19], v[24:25]
	v_fma_f64 v[20:21], v[90:91], s[6:7], v[20:21]
	v_add_f64_e32 v[2:3], v[126:127], v[94:95]
	v_fma_f64 v[90:91], v[104:105], s[14:15], v[98:99]
	v_fma_f64 v[94:95], v[104:105], s[6:7], v[96:97]
	v_add_f64_e64 v[225:226], v[76:77], -v[80:81]
	v_add_f64_e32 v[76:77], v[76:77], v[217:218]
	v_add_f64_e64 v[136:137], v[136:137], -v[50:51]
	v_fma_f64 v[8:9], v[164:165], -0.5, v[8:9]
	v_fma_f64 v[98:99], v[108:109], s[6:7], v[0:1]
	v_add_f64_e32 v[0:1], v[16:17], v[56:57]
	v_add_f64_e32 v[12:13], v[22:23], v[28:29]
	v_add_f64_e64 v[102:103], v[84:85], -v[52:53]
	v_add_f64_e32 v[84:85], v[84:85], v[247:248]
	v_add_f64_e64 v[181:182], v[74:75], -v[72:73]
	v_add_f64_e64 v[213:214], v[82:83], -v[80:81]
	;; [unrolled: 1-line block ×3, first 2 shown]
	v_add_f64_e32 v[114:115], v[152:153], v[154:155]
	v_fma_f64 v[46:47], v[120:121], s[12:13], v[122:123]
	v_add_f64_e32 v[154:155], v[187:188], v[189:190]
	v_fma_f64 v[122:123], v[120:121], s[10:11], v[122:123]
	v_fma_f64 v[132:133], v[124:125], s[10:11], v[140:141]
	;; [unrolled: 1-line block ×5, first 2 shown]
	v_add_f64_e32 v[68:69], v[72:73], v[68:69]
	v_fma_f64 v[72:73], v[193:194], s[10:11], v[156:157]
	v_fma_f64 v[156:157], v[193:194], s[12:13], v[156:157]
	;; [unrolled: 1-line block ×6, first 2 shown]
	v_add_f64_e64 v[221:222], v[26:27], -v[28:29]
	v_add_f64_e32 v[34:35], v[34:35], v[40:41]
	v_fma_f64 v[40:41], v[205:206], s[12:13], v[162:163]
	v_fma_f64 v[183:184], v[174:175], s[10:11], v[150:151]
	;; [unrolled: 1-line block ×4, first 2 shown]
	v_add_f64_e32 v[16:17], v[24:25], v[60:61]
	v_fma_f64 v[22:23], v[62:63], s[2:3], v[20:21]
	v_add_f64_e32 v[58:59], v[142:143], v[58:59]
	v_fma_f64 v[20:21], v[100:101], s[2:3], v[90:91]
	v_fma_f64 v[24:25], v[100:101], s[2:3], v[94:95]
	scratch_load_b64 v[100:101], off, off offset:160 th:TH_LOAD_LU ; 8-byte Folded Reload
	v_add_f64_e32 v[76:77], v[80:81], v[76:77]
	v_fma_f64 v[80:81], v[225:226], s[10:11], v[168:169]
	v_fma_f64 v[168:169], v[225:226], s[12:13], v[168:169]
	v_add_f64_e32 v[38:39], v[38:39], v[42:43]
	v_fma_f64 v[42:43], v[170:171], s[12:13], v[146:147]
	v_fma_f64 v[146:147], v[170:171], s[10:11], v[146:147]
	;; [unrolled: 1-line block ×5, first 2 shown]
	v_add_f64_e64 v[245:246], v[54:55], -v[52:53]
	v_add_f64_e64 v[235:236], v[52:53], -v[54:55]
	v_fma_f64 v[8:9], v[136:137], s[10:11], v[8:9]
	v_fma_f64 v[26:27], v[237:238], s[12:13], v[32:33]
	;; [unrolled: 1-line block ×4, first 2 shown]
	v_add_f64_e32 v[52:53], v[52:53], v[84:85]
	v_fma_f64 v[84:85], v[102:103], s[10:11], v[14:15]
	v_add_f64_e32 v[164:165], v[211:212], v[213:214]
	v_add_f64_e32 v[172:173], v[227:228], v[229:230]
	v_fma_f64 v[88:89], v[66:67], s[6:7], v[88:89]
	v_fma_f64 v[66:67], v[66:67], s[14:15], v[10:11]
	v_fma_f64 v[96:97], v[108:109], s[14:15], v[118:119]
	v_fma_f64 v[56:57], v[124:125], s[14:15], v[122:123]
	v_fma_f64 v[104:105], v[120:121], s[6:7], v[132:133]
	v_fma_f64 v[108:109], v[120:121], s[14:15], v[138:139]
	v_fma_f64 v[118:119], v[136:137], s[14:15], v[140:141]
	v_fma_f64 v[120:121], v[136:137], s[6:7], v[128:129]
	v_add_f64_e32 v[10:11], v[74:75], v[68:69]
	v_fma_f64 v[68:69], v[70:71], s[14:15], v[72:73]
	v_fma_f64 v[70:71], v[70:71], s[6:7], v[156:157]
	;; [unrolled: 1-line block ×4, first 2 shown]
	v_add_f64_e32 v[152:153], v[176:177], v[181:182]
	v_fma_f64 v[128:129], v[170:171], s[14:15], v[150:151]
	v_fma_f64 v[72:73], v[193:194], s[6:7], v[187:188]
	v_add_f64_e32 v[166:167], v[219:220], v[221:222]
	v_fma_f64 v[138:139], v[209:210], s[14:15], v[162:163]
	v_add_f64_e32 v[6:7], v[50:51], v[58:59]
	v_fma_f64 v[40:41], v[209:210], s[6:7], v[40:41]
	v_fma_f64 v[80:81], v[78:79], s[14:15], v[80:81]
	;; [unrolled: 1-line block ×3, first 2 shown]
	v_add_f64_e32 v[4:5], v[38:39], v[48:49]
	v_fma_f64 v[48:49], v[174:175], s[6:7], v[42:43]
	v_fma_f64 v[58:59], v[174:175], s[14:15], v[146:147]
	;; [unrolled: 1-line block ×7, first 2 shown]
	v_add_f64_e32 v[181:182], v[243:244], v[245:246]
	v_fma_f64 v[148:149], v[237:238], s[14:15], v[199:200]
	v_fma_f64 v[150:151], v[102:103], s[6:7], v[207:208]
	v_add_f64_e32 v[176:177], v[233:234], v[235:236]
	v_fma_f64 v[46:47], v[124:125], s[6:7], v[46:47]
	v_fma_f64 v[124:125], v[158:159], s[6:7], v[8:9]
	;; [unrolled: 1-line block ×8, first 2 shown]
	v_add_f64_e32 v[14:15], v[82:83], v[76:77]
	v_add_f64_e32 v[8:9], v[34:35], v[30:31]
	v_add_f64_e32 v[18:19], v[54:55], v[52:53]
	v_fma_f64 v[42:43], v[116:117], s[2:3], v[56:57]
	v_fma_f64 v[26:27], v[62:63], s[2:3], v[64:65]
	;; [unrolled: 1-line block ×37, first 2 shown]
	s_wait_loadcnt 0x0
	v_add_co_u32 v102, vcc_lo, s8, v100
	s_wait_alu 0xfffd
	v_add_co_ci_u32_e32 v103, vcc_lo, s9, v101, vcc_lo
	v_lshlrev_b64_e32 v[100:101], 4, v[179:180]
	s_delay_alu instid0(VALU_DEP_3) | instskip(SKIP_1) | instid1(VALU_DEP_3)
	v_add_co_u32 v102, vcc_lo, v102, v130
	s_wait_alu 0xfffd
	v_add_co_ci_u32_e32 v103, vcc_lo, v103, v131, vcc_lo
	s_delay_alu instid0(VALU_DEP_2) | instskip(SKIP_1) | instid1(VALU_DEP_2)
	v_add_co_u32 v100, vcc_lo, v102, v100
	s_wait_alu 0xfffd
	v_add_co_ci_u32_e32 v101, vcc_lo, v103, v101, vcc_lo
	s_clause 0x18
	global_store_b128 v[102:103], v[12:15], off offset:1760
	global_store_b128 v[102:103], v[8:11], off offset:2640
	global_store_b128 v[102:103], v[0:3], off
	global_store_b128 v[102:103], v[16:19], off offset:880
	global_store_b128 v[102:103], v[68:71], off offset:6160
	;; [unrolled: 1-line block ×22, first 2 shown]
.LBB0_19:
	s_nop 0
	s_sendmsg sendmsg(MSG_DEALLOC_VGPRS)
	s_endpgm
	.section	.rodata,"a",@progbits
	.p2align	6, 0x0
	.amdhsa_kernel fft_rtc_back_len1375_factors_11_5_5_5_wgs_55_tpt_55_halfLds_dp_ip_CI_unitstride_sbrr_dirReg
		.amdhsa_group_segment_fixed_size 0
		.amdhsa_private_segment_fixed_size 172
		.amdhsa_kernarg_size 88
		.amdhsa_user_sgpr_count 2
		.amdhsa_user_sgpr_dispatch_ptr 0
		.amdhsa_user_sgpr_queue_ptr 0
		.amdhsa_user_sgpr_kernarg_segment_ptr 1
		.amdhsa_user_sgpr_dispatch_id 0
		.amdhsa_user_sgpr_private_segment_size 0
		.amdhsa_wavefront_size32 1
		.amdhsa_uses_dynamic_stack 0
		.amdhsa_enable_private_segment 1
		.amdhsa_system_sgpr_workgroup_id_x 1
		.amdhsa_system_sgpr_workgroup_id_y 0
		.amdhsa_system_sgpr_workgroup_id_z 0
		.amdhsa_system_sgpr_workgroup_info 0
		.amdhsa_system_vgpr_workitem_id 0
		.amdhsa_next_free_vgpr 255
		.amdhsa_next_free_sgpr 38
		.amdhsa_reserve_vcc 1
		.amdhsa_float_round_mode_32 0
		.amdhsa_float_round_mode_16_64 0
		.amdhsa_float_denorm_mode_32 3
		.amdhsa_float_denorm_mode_16_64 3
		.amdhsa_fp16_overflow 0
		.amdhsa_workgroup_processor_mode 1
		.amdhsa_memory_ordered 1
		.amdhsa_forward_progress 0
		.amdhsa_round_robin_scheduling 0
		.amdhsa_exception_fp_ieee_invalid_op 0
		.amdhsa_exception_fp_denorm_src 0
		.amdhsa_exception_fp_ieee_div_zero 0
		.amdhsa_exception_fp_ieee_overflow 0
		.amdhsa_exception_fp_ieee_underflow 0
		.amdhsa_exception_fp_ieee_inexact 0
		.amdhsa_exception_int_div_zero 0
	.end_amdhsa_kernel
	.text
.Lfunc_end0:
	.size	fft_rtc_back_len1375_factors_11_5_5_5_wgs_55_tpt_55_halfLds_dp_ip_CI_unitstride_sbrr_dirReg, .Lfunc_end0-fft_rtc_back_len1375_factors_11_5_5_5_wgs_55_tpt_55_halfLds_dp_ip_CI_unitstride_sbrr_dirReg
                                        ; -- End function
	.section	.AMDGPU.csdata,"",@progbits
; Kernel info:
; codeLenInByte = 19384
; NumSgprs: 40
; NumVgprs: 255
; ScratchSize: 172
; MemoryBound: 1
; FloatMode: 240
; IeeeMode: 1
; LDSByteSize: 0 bytes/workgroup (compile time only)
; SGPRBlocks: 4
; VGPRBlocks: 31
; NumSGPRsForWavesPerEU: 40
; NumVGPRsForWavesPerEU: 255
; Occupancy: 5
; WaveLimiterHint : 1
; COMPUTE_PGM_RSRC2:SCRATCH_EN: 1
; COMPUTE_PGM_RSRC2:USER_SGPR: 2
; COMPUTE_PGM_RSRC2:TRAP_HANDLER: 0
; COMPUTE_PGM_RSRC2:TGID_X_EN: 1
; COMPUTE_PGM_RSRC2:TGID_Y_EN: 0
; COMPUTE_PGM_RSRC2:TGID_Z_EN: 0
; COMPUTE_PGM_RSRC2:TIDIG_COMP_CNT: 0
	.text
	.p2alignl 7, 3214868480
	.fill 96, 4, 3214868480
	.type	__hip_cuid_2eaf0286c7d34f7b,@object ; @__hip_cuid_2eaf0286c7d34f7b
	.section	.bss,"aw",@nobits
	.globl	__hip_cuid_2eaf0286c7d34f7b
__hip_cuid_2eaf0286c7d34f7b:
	.byte	0                               ; 0x0
	.size	__hip_cuid_2eaf0286c7d34f7b, 1

	.ident	"AMD clang version 19.0.0git (https://github.com/RadeonOpenCompute/llvm-project roc-6.4.0 25133 c7fe45cf4b819c5991fe208aaa96edf142730f1d)"
	.section	".note.GNU-stack","",@progbits
	.addrsig
	.addrsig_sym __hip_cuid_2eaf0286c7d34f7b
	.amdgpu_metadata
---
amdhsa.kernels:
  - .args:
      - .actual_access:  read_only
        .address_space:  global
        .offset:         0
        .size:           8
        .value_kind:     global_buffer
      - .offset:         8
        .size:           8
        .value_kind:     by_value
      - .actual_access:  read_only
        .address_space:  global
        .offset:         16
        .size:           8
        .value_kind:     global_buffer
      - .actual_access:  read_only
        .address_space:  global
        .offset:         24
        .size:           8
        .value_kind:     global_buffer
      - .offset:         32
        .size:           8
        .value_kind:     by_value
      - .actual_access:  read_only
        .address_space:  global
        .offset:         40
        .size:           8
        .value_kind:     global_buffer
      - .actual_access:  read_only
        .address_space:  global
        .offset:         48
        .size:           8
        .value_kind:     global_buffer
      - .offset:         56
        .size:           4
        .value_kind:     by_value
      - .actual_access:  read_only
        .address_space:  global
        .offset:         64
        .size:           8
        .value_kind:     global_buffer
      - .actual_access:  read_only
        .address_space:  global
        .offset:         72
        .size:           8
        .value_kind:     global_buffer
      - .address_space:  global
        .offset:         80
        .size:           8
        .value_kind:     global_buffer
    .group_segment_fixed_size: 0
    .kernarg_segment_align: 8
    .kernarg_segment_size: 88
    .language:       OpenCL C
    .language_version:
      - 2
      - 0
    .max_flat_workgroup_size: 55
    .name:           fft_rtc_back_len1375_factors_11_5_5_5_wgs_55_tpt_55_halfLds_dp_ip_CI_unitstride_sbrr_dirReg
    .private_segment_fixed_size: 172
    .sgpr_count:     40
    .sgpr_spill_count: 0
    .symbol:         fft_rtc_back_len1375_factors_11_5_5_5_wgs_55_tpt_55_halfLds_dp_ip_CI_unitstride_sbrr_dirReg.kd
    .uniform_work_group_size: 1
    .uses_dynamic_stack: false
    .vgpr_count:     255
    .vgpr_spill_count: 122
    .wavefront_size: 32
    .workgroup_processor_mode: 1
amdhsa.target:   amdgcn-amd-amdhsa--gfx1201
amdhsa.version:
  - 1
  - 2
...

	.end_amdgpu_metadata
